;; amdgpu-corpus repo=ggml-org/llama.cpp kind=compiled arch=gfx906 opt=O3
	.amdgcn_target "amdgcn-amd-amdhsa--gfx906"
	.amdhsa_code_object_version 6
	.section	.text._ZL15flash_attn_tileILi320ELi256ELi1ELi32ELb0EEvPKcS1_S1_S1_S1_PKiPfP15HIP_vector_typeIfLj2EEffffjfiS5_IjLj3EEiiiiiiiiiiiliiliiiiil,"axG",@progbits,_ZL15flash_attn_tileILi320ELi256ELi1ELi32ELb0EEvPKcS1_S1_S1_S1_PKiPfP15HIP_vector_typeIfLj2EEffffjfiS5_IjLj3EEiiiiiiiiiiiliiliiiiil,comdat
	.globl	_ZL15flash_attn_tileILi320ELi256ELi1ELi32ELb0EEvPKcS1_S1_S1_S1_PKiPfP15HIP_vector_typeIfLj2EEffffjfiS5_IjLj3EEiiiiiiiiiiiliiliiiiil ; -- Begin function _ZL15flash_attn_tileILi320ELi256ELi1ELi32ELb0EEvPKcS1_S1_S1_S1_PKiPfP15HIP_vector_typeIfLj2EEffffjfiS5_IjLj3EEiiiiiiiiiiiliiliiiiil
	.p2align	8
	.type	_ZL15flash_attn_tileILi320ELi256ELi1ELi32ELb0EEvPKcS1_S1_S1_S1_PKiPfP15HIP_vector_typeIfLj2EEffffjfiS5_IjLj3EEiiiiiiiiiiiliiliiiiil,@function
_ZL15flash_attn_tileILi320ELi256ELi1ELi32ELb0EEvPKcS1_S1_S1_S1_PKiPfP15HIP_vector_typeIfLj2EEffffjfiS5_IjLj3EEiiiiiiiiiiiliiliiiiil: ; @_ZL15flash_attn_tileILi320ELi256ELi1ELi32ELb0EEvPKcS1_S1_S1_S1_PKiPfP15HIP_vector_typeIfLj2EEffffjfiS5_IjLj3EEiiiiiiiiiiiliiliiiiil
; %bb.0:
	s_load_dwordx4 s[0:3], s[4:5], 0x5c
	s_load_dwordx2 s[24:25], s[4:5], 0x80
	s_load_dwordx2 s[28:29], s[4:5], 0xb8
	s_mov_b64 s[26:27], 0
	s_waitcnt lgkmcnt(0)
	s_ashr_i32 s9, s3, 31
	s_lshr_b32 s9, s9, 27
	s_add_i32 s9, s3, s9
	s_ashr_i32 s9, s9, 5
	v_cvt_f32_u32_e32 v2, s9
	s_sub_i32 s10, 0, s9
	v_rcp_iflag_f32_e32 v2, v2
	v_mul_f32_e32 v2, 0x4f7ffffe, v2
	v_cvt_u32_f32_e32 v2, v2
	v_readfirstlane_b32 s11, v2
	s_mul_i32 s10, s10, s11
	s_mul_hi_u32 s10, s11, s10
	s_add_i32 s11, s11, s10
	s_mul_hi_u32 s10, s8, s11
	s_mul_i32 s11, s10, s9
	s_sub_i32 s11, s8, s11
	s_add_i32 s12, s10, 1
	s_sub_i32 s13, s11, s9
	s_cmp_ge_u32 s11, s9
	s_cselect_b32 s10, s12, s10
	s_cselect_b32 s11, s13, s11
	s_add_i32 s12, s10, 1
	s_cmp_ge_u32 s11, s9
	s_cselect_b32 s30, s12, s10
	s_abs_i32 s9, s25
	v_cvt_f32_u32_e32 v2, s9
	s_lshl_b32 s8, s8, 5
	s_mul_i32 s12, s30, s3
	s_xor_b32 s10, s3, s25
	v_rcp_iflag_f32_e32 v2, v2
	s_sub_i32 s13, 0, s9
	s_sub_i32 s25, s8, s12
	s_abs_i32 s11, s3
	v_mul_f32_e32 v2, 0x4f7ffffe, v2
	v_cvt_u32_f32_e32 v2, v2
	s_ashr_i32 s10, s10, 31
	v_readfirstlane_b32 s8, v2
	s_mul_i32 s13, s13, s8
	s_mul_hi_u32 s12, s8, s13
	s_add_i32 s8, s8, s12
	s_mul_hi_u32 s8, s11, s8
	s_mul_i32 s12, s8, s9
	s_sub_i32 s11, s11, s12
	s_add_i32 s13, s8, 1
	s_sub_i32 s12, s11, s9
	s_cmp_ge_u32 s11, s9
	s_cselect_b32 s8, s13, s8
	s_cselect_b32 s11, s12, s11
	s_add_i32 s12, s8, 1
	s_cmp_ge_u32 s11, s9
	s_cselect_b32 s8, s12, s8
	s_xor_b32 s8, s8, s10
	s_sub_i32 s33, s8, s10
	s_abs_i32 s31, s33
	v_cvt_f32_u32_e32 v2, s31
	s_load_dwordx16 s[8:23], s[4:5], 0x0
	v_rcp_iflag_f32_e32 v2, v2
	s_waitcnt lgkmcnt(0)
	s_cmp_eq_u64 s[14:15], 0
	v_mul_f32_e32 v2, 0x4f7ffffe, v2
	v_cvt_u32_f32_e32 v2, v2
	v_readfirstlane_b32 s34, v2
	s_cbranch_scc1 .LBB0_2
; %bb.1:
	s_abs_i32 s28, s28
	v_cvt_f32_u32_e32 v2, s28
	s_sub_i32 s37, 0, s28
	s_abs_i32 s36, s30
	s_ashr_i32 s35, s30, 31
	v_rcp_iflag_f32_e32 v2, v2
	s_load_dwordx2 s[26:27], s[4:5], 0xc8
	v_mul_f32_e32 v2, 0x4f7ffffe, v2
	v_cvt_u32_f32_e32 v2, v2
	v_readfirstlane_b32 s38, v2
	s_mul_i32 s37, s37, s38
	s_mul_hi_u32 s37, s38, s37
	s_add_i32 s38, s38, s37
	s_mul_hi_u32 s37, s36, s38
	s_mul_i32 s37, s37, s28
	s_sub_i32 s36, s36, s37
	s_sub_i32 s37, s36, s28
	s_cmp_ge_u32 s36, s28
	s_cselect_b32 s36, s37, s36
	s_sub_i32 s37, s36, s28
	s_cmp_ge_u32 s36, s28
	s_cselect_b32 s28, s37, s36
	s_xor_b32 s28, s28, s35
	s_sub_i32 s28, s28, s35
	s_ashr_i32 s35, s28, 31
	s_waitcnt lgkmcnt(0)
	s_mul_hi_u32 s36, s26, s28
	s_mul_i32 s35, s26, s35
	s_mul_i32 s27, s27, s28
	s_add_i32 s35, s36, s35
	s_add_i32 s35, s35, s27
	s_mul_i32 s26, s26, s28
	s_add_u32 s26, s14, s26
	s_addc_u32 s27, s15, s35
.LBB0_2:
	v_lshrrev_b32_e32 v2, 4, v1
	s_load_dwordx4 s[36:39], s[4:5], 0x70
	v_add_u32_e32 v20, s6, v2
	v_mul_hi_u32 v2, s0, v20
	v_lshlrev_b32_e32 v8, 4, v0
	v_mul_u32_u24_e32 v23, 0x500, v1
	s_waitcnt lgkmcnt(0)
	s_mul_i32 s0, s30, s38
	v_add_u32_e32 v2, v20, v2
	s_ashr_i32 s15, s0, 31
	v_lshrrev_b32_e32 v2, s1, v2
	s_mul_i32 s14, s25, s37
	s_add_u32 s0, s8, s0
	v_mul_lo_u32 v2, v2, s2
	s_addc_u32 s8, s9, s15
	s_ashr_i32 s9, s14, 31
	s_add_u32 s28, s0, s14
	s_addc_u32 s14, s8, s9
	s_ashr_i32 s9, s37, 31
	s_mov_b32 s8, s37
	s_ashr_i32 s37, s36, 31
	v_sub_u32_e32 v4, v20, v2
	s_lshr_b64 s[0:1], s[36:37], 2
	v_mad_u64_u32 v[2:3], s[0:1], s0, v4, 0
	s_lshr_b32 s0, s37, 2
	v_mad_u64_u32 v[5:6], s[0:1], s0, v4, v[3:4]
	v_lshlrev_b32_e32 v6, 1, v1
	s_lshr_b64 s[0:1], s[8:9], 2
	v_and_b32_e32 v22, 30, v6
	v_mov_b32_e32 v3, v5
	v_mov_b32_e32 v5, s14
	v_mad_u64_u32 v[9:10], s[14:15], s0, v22, 0
	v_lshlrev_b64 v[2:3], 2, v[2:3]
	s_lshr_b32 s8, s9, 2
	v_add_co_u32_e32 v7, vcc, s28, v2
	v_mov_b32_e32 v2, v10
	v_addc_co_u32_e32 v5, vcc, v5, v3, vcc
	v_mad_u64_u32 v[2:3], s[8:9], s8, v22, v[2:3]
	v_add_co_u32_e32 v7, vcc, v7, v8
	v_mov_b32_e32 v10, v2
	v_lshlrev_b64 v[2:3], 2, v[9:10]
	v_addc_co_u32_e32 v8, vcc, 0, v5, vcc
	v_add_co_u32_e32 v2, vcc, v7, v2
	v_addc_co_u32_e32 v3, vcc, v8, v3, vcc
	global_load_dwordx4 v[9:12], v[2:3], off
	global_load_dwordx4 v[13:16], v[2:3], off offset:512
	s_load_dword s14, s[4:5], 0x40
	v_lshlrev_b32_e32 v5, 3, v0
	s_movk_i32 s8, 0x500
	v_mad_u32_u24 v17, v1, s8, v5
	v_cmp_gt_u32_e32 vcc, 16, v0
	s_waitcnt vmcnt(1) lgkmcnt(0)
	v_fma_mixlo_f16 v9, s14, v9, 0
	v_fma_mixlo_f16 v10, s14, v10, 0
	v_fma_mixlo_f16 v11, s14, v11, 0
	v_fma_mixlo_f16 v12, s14, v12, 0
	s_waitcnt vmcnt(0)
	v_fma_mixlo_f16 v13, s14, v13, 0
	v_fma_mixlo_f16 v14, s14, v14, 0
	;; [unrolled: 1-line block ×4, first 2 shown]
	v_lshlrev_b32_e32 v10, 16, v10
	v_and_b32_e32 v9, 0xffff, v9
	v_lshlrev_b32_e32 v12, 16, v12
	v_and_b32_e32 v11, 0xffff, v11
	;; [unrolled: 2-line block ×4, first 2 shown]
	v_or_b32_e32 v9, v10, v9
	v_or3_b32 v10, v12, v11, 0
	v_or_b32_e32 v11, v14, v13
	v_or3_b32 v12, v16, v15, 0
	v_or3_b32 v9, 0, 0, v9
	;; [unrolled: 1-line block ×3, first 2 shown]
	ds_write2_b64 v17, v[9:10], v[11:12] offset1:32
	s_and_saveexec_b64 s[8:9], vcc
	s_cbranch_execz .LBB0_4
; %bb.3:
	global_load_dwordx4 v[9:12], v[2:3], off offset:1024
	s_waitcnt vmcnt(0)
	v_fma_mixlo_f16 v2, s14, v9, 0
	v_fma_mixlo_f16 v3, s14, v10, 0
	;; [unrolled: 1-line block ×4, first 2 shown]
	v_lshlrev_b32_e32 v3, 16, v3
	v_and_b32_e32 v2, 0xffff, v2
	v_lshlrev_b32_e32 v10, 16, v10
	v_and_b32_e32 v9, 0xffff, v9
	v_or_b32_e32 v2, v3, v2
	v_or3_b32 v3, v10, v9, 0
	v_or3_b32 v2, 0, 0, v2
	v_add_u32_e32 v9, v5, v23
	ds_write_b64 v9, v[2:3] offset:512
.LBB0_4:
	s_or_b64 exec, exec, s[8:9]
	v_or_b32_e32 v6, 1, v6
	v_and_b32_e32 v9, 31, v6
	v_mad_u64_u32 v[2:3], s[8:9], s0, v9, 0
	v_mad_u64_u32 v[9:10], s[0:1], s1, v9, v[3:4]
	v_mov_b32_e32 v3, v9
	v_lshlrev_b64 v[2:3], 2, v[2:3]
	v_add_co_u32_e64 v2, s[0:1], v7, v2
	v_addc_co_u32_e64 v3, s[0:1], v8, v3, s[0:1]
	global_load_dwordx4 v[7:10], v[2:3], off
	global_load_dwordx4 v[11:14], v[2:3], off offset:512
	s_movk_i32 s0, 0x280
	v_mad_u32_u24 v15, v6, s0, v5
	s_waitcnt vmcnt(1)
	v_fma_mixlo_f16 v7, s14, v7, 0
	v_fma_mixlo_f16 v8, s14, v8, 0
	;; [unrolled: 1-line block ×4, first 2 shown]
	s_waitcnt vmcnt(0)
	v_fma_mixlo_f16 v11, s14, v11, 0
	v_fma_mixlo_f16 v12, s14, v12, 0
	;; [unrolled: 1-line block ×4, first 2 shown]
	v_lshlrev_b32_e32 v8, 16, v8
	v_and_b32_e32 v7, 0xffff, v7
	v_lshlrev_b32_e32 v10, 16, v10
	v_and_b32_e32 v9, 0xffff, v9
	;; [unrolled: 2-line block ×4, first 2 shown]
	v_or_b32_e32 v7, v8, v7
	v_or3_b32 v8, v10, v9, 0
	v_or_b32_e32 v9, v12, v11
	v_or3_b32 v10, v14, v13, 0
	v_or3_b32 v7, 0, 0, v7
	;; [unrolled: 1-line block ×3, first 2 shown]
	ds_write2_b64 v15, v[7:8], v[9:10] offset1:32
	s_and_saveexec_b64 s[0:1], vcc
	s_cbranch_execz .LBB0_6
; %bb.5:
	global_load_dwordx4 v[7:10], v[2:3], off offset:1024
	v_mul_u32_u24_e32 v6, 0x280, v6
	v_add_u32_e32 v6, v5, v6
	s_waitcnt vmcnt(0)
	v_fma_mixlo_f16 v2, s14, v7, 0
	v_fma_mixlo_f16 v3, s14, v8, 0
	v_fma_mixlo_f16 v7, s14, v9, 0
	v_fma_mixlo_f16 v8, s14, v10, 0
	v_lshlrev_b32_e32 v3, 16, v3
	v_and_b32_e32 v2, 0xffff, v2
	v_lshlrev_b32_e32 v8, 16, v8
	v_and_b32_e32 v7, 0xffff, v7
	v_or_b32_e32 v2, v3, v2
	v_or3_b32 v3, v8, v7, 0
	v_or3_b32 v2, 0, 0, v2
	ds_write_b64 v6, v[2:3] offset:512
.LBB0_6:
	s_or_b64 exec, exec, s[0:1]
	s_cmp_eq_u64 s[18:19], 0
	s_waitcnt lgkmcnt(0)
	s_barrier
	s_cbranch_scc1 .LBB0_8
; %bb.7:
	s_load_dword s0, s[4:5], 0xd0
	s_mov_b32 s1, 0
	s_waitcnt lgkmcnt(0)
	s_mul_i32 s0, s0, s30
	s_add_i32 s0, s0, s6
	s_lshl_b64 s[0:1], s[0:1], 2
	s_add_u32 s0, s18, s0
	s_addc_u32 s1, s19, s1
	s_load_dword s24, s[0:1], 0x0
.LBB0_8:
	s_lshl_b32 s6, s7, 7
	v_lshlrev_b32_e32 v21, 2, v0
	s_waitcnt lgkmcnt(0)
	s_cmp_lt_i32 s6, s24
	v_mbcnt_lo_u32_b32 v2, -1, 0
	s_cbranch_scc1 .LBB0_11
; %bb.9:
	v_mbcnt_hi_u32_b32 v24, -1, v2
	v_and_b32_e32 v3, 0x60, v24
	v_add_u32_e32 v25, 32, v3
	v_xor_b32_e32 v30, 16, v24
	v_xor_b32_e32 v29, 8, v24
	v_xor_b32_e32 v28, 4, v24
	v_xor_b32_e32 v27, 2, v24
	v_xor_b32_e32 v26, 1, v24
	s_cbranch_execz .LBB0_12
; %bb.10:
	v_mov_b32_e32 v53, 0
	v_mov_b32_e32 v31, 0
	;; [unrolled: 1-line block ×12, first 2 shown]
	s_branch .LBB0_14
.LBB0_11:
                                        ; implicit-def: $vgpr24
                                        ; implicit-def: $vgpr25
                                        ; implicit-def: $vgpr30
                                        ; implicit-def: $vgpr29
                                        ; implicit-def: $vgpr28
                                        ; implicit-def: $vgpr27
                                        ; implicit-def: $vgpr26
.LBB0_12:
	s_sub_i32 s0, 0, s31
	s_mul_i32 s0, s0, s34
	s_mul_hi_u32 s0, s34, s0
	s_add_i32 s34, s34, s0
	s_load_dwordx2 s[0:1], s[4:5], 0x8c
	s_load_dwordx4 s[36:39], s[4:5], 0x98
	s_abs_i32 s18, s25
	s_mul_hi_u32 s19, s18, s34
	s_ashr_i32 s28, s25, 31
	s_waitcnt lgkmcnt(0)
	s_ashr_i32 s9, s0, 2
	s_ashr_i32 s0, s30, 31
	s_mul_hi_u32 s34, s36, s30
	s_mul_i32 s35, s36, s0
	s_add_i32 s34, s34, s35
	s_mul_i32 s35, s37, s30
	s_ashr_i32 s33, s33, 31
	s_ashr_i32 s8, s38, 2
	;; [unrolled: 1-line block ×3, first 2 shown]
	s_add_i32 s34, s34, s35
	s_mul_i32 s35, s36, s30
	s_add_u32 s10, s10, s35
	s_addc_u32 s11, s11, s34
	s_xor_b32 s28, s28, s33
	s_mul_i32 s33, s19, s31
	s_sub_i32 s18, s18, s33
	s_add_i32 s33, s19, 1
	s_sub_i32 s34, s18, s31
	s_cmp_ge_u32 s18, s31
	s_cselect_b32 s19, s33, s19
	s_cselect_b32 s18, s34, s18
	s_add_i32 s33, s19, 1
	s_cmp_ge_u32 s18, s31
	s_load_dwordx2 s[14:15], s[4:5], 0xa8
	s_cselect_b32 s18, s33, s19
	s_xor_b32 s18, s18, s28
	s_sub_i32 s18, s18, s28
	s_mul_i32 s1, s18, s1
	s_ashr_i32 s19, s1, 31
	s_add_u32 s10, s10, s1
	s_waitcnt lgkmcnt(0)
	s_mul_hi_u32 s1, s14, s30
	s_mul_i32 s0, s14, s0
	s_addc_u32 s11, s11, s19
	s_add_i32 s0, s1, s0
	s_mul_i32 s1, s15, s30
	s_add_i32 s0, s0, s1
	s_mul_i32 s1, s14, s30
	s_add_u32 s1, s12, s1
	s_mul_i32 s18, s18, s39
	s_addc_u32 s0, s13, s0
	s_ashr_i32 s13, s18, 31
	s_add_u32 s12, s1, s18
	v_lshrrev_b32_e32 v3, 3, v0
	v_and_b32_e32 v14, 28, v21
	s_addc_u32 s13, s0, s13
	v_lshl_add_u32 v3, v1, 2, v3
	v_lshlrev_b32_e32 v7, 2, v14
	s_movk_i32 s0, 0x90
	v_mul_lo_u32 v6, s9, v3
	v_mad_u32_u24 v3, v3, s0, v7
	v_add_u32_e32 v32, 0x5000, v3
	v_add_u32_e32 v33, 0x7400, v3
	v_mov_b32_e32 v3, 0x5000
	v_mad_u32_u24 v34, v0, s0, v3
	v_mul_lo_u32 v3, s8, v1
	v_lshl_add_u32 v12, s9, 6, v6
	v_mad_u64_u32 v[9:10], s[0:1], v4, s29, v[0:1]
	v_lshlrev_b32_e32 v4, 9, v1
	v_lshl_add_u32 v16, s8, 4, v3
	v_ashrrev_i32_e32 v7, 31, v6
	v_ashrrev_i32_e32 v13, 31, v12
	v_add_u32_e32 v35, 0x9800, v4
	v_lshl_add_u32 v1, v21, 2, v4
	v_ashrrev_i32_e32 v4, 31, v3
	v_ashrrev_i32_e32 v17, 31, v16
	v_mbcnt_hi_u32_b32 v24, -1, v2
	v_add_u32_e32 v36, 0x5000, v1
	v_add_u32_e32 v37, 0x7000, v1
	v_or_b32_e32 v38, 0x5000, v5
	s_add_u32 s0, s4, 0xd0
	v_lshlrev_b64 v[10:11], 2, v[6:7]
	v_lshlrev_b32_e32 v39, 2, v14
	v_lshlrev_b64 v[12:13], 2, v[12:13]
	v_and_b32_e32 v1, 0x60, v24
	v_lshlrev_b64 v[14:15], 2, v[3:4]
	v_lshlrev_b64 v[16:17], 2, v[16:17]
	v_mov_b32_e32 v8, 0
	s_addc_u32 s1, s5, 0
	v_mov_b32_e32 v18, 0xfeffffff
	v_add_u32_e32 v25, 32, v1
	v_xor_b32_e32 v30, 16, v24
	v_xor_b32_e32 v29, 8, v24
	;; [unrolled: 1-line block ×5, first 2 shown]
	v_mov_b32_e32 v40, s27
	s_mov_b32 s14, 0x3fb8aa3b
	s_mov_b32 s15, 0xc2ce8ed0
	;; [unrolled: 1-line block ×3, first 2 shown]
	v_mov_b32_e32 v41, 0x7f800000
	s_mov_b32 s19, 0x10001
	v_add_u32_e32 v42, v35, v21
	v_lshlrev_b32_e32 v43, 2, v21
	v_add_u32_e32 v44, 0x800, v38
	v_add_u32_e32 v45, 0x1000, v38
	;; [unrolled: 1-line block ×7, first 2 shown]
	v_mov_b32_e32 v52, 0
	v_mov_b32_e32 v54, 0
	v_mov_b32_e32 v7, 0
	v_mov_b32_e32 v56, 0
	v_mov_b32_e32 v55, 0
	v_mov_b32_e32 v57, 0
	v_mov_b32_e32 v53, 0
	v_mov_b32_e32 v19, 0xfeffffff
	v_mov_b32_e32 v51, 0
	v_mov_b32_e32 v31, 0
.LBB0_13:                               ; =>This Inner Loop Header: Depth=1
	s_mul_hi_i32 s29, s6, s9
	s_mul_i32 s28, s6, s9
	s_lshl_b64 s[28:29], s[28:29], 2
	s_add_u32 s27, s10, s28
	s_addc_u32 s28, s11, s29
	v_add_co_u32_e32 v1, vcc, s27, v10
	v_mov_b32_e32 v2, s28
	v_addc_co_u32_e32 v2, vcc, v2, v11, vcc
	v_add_co_u32_e32 v1, vcc, v1, v39
	v_addc_co_u32_e32 v2, vcc, 0, v2, vcc
	global_load_dwordx4 v[58:61], v[1:2], off
	v_add_co_u32_e32 v3, vcc, s27, v12
	v_mov_b32_e32 v4, s28
	v_addc_co_u32_e32 v4, vcc, v4, v13, vcc
	v_add_co_u32_e32 v3, vcc, v3, v39
	v_addc_co_u32_e32 v4, vcc, 0, v4, vcc
	v_mov_b32_e32 v6, v51
	v_mov_b32_e32 v51, v18
	v_mov_b32_e32 v18, 0
	v_mov_b32_e32 v5, v19
	v_mov_b32_e32 v19, 0
	v_cmp_lt_i32_e32 vcc, v30, v25
	s_mul_hi_i32 s29, s6, s8
	s_mul_i32 s28, s6, s8
	s_lshl_b64 s[28:29], s[28:29], 2
	s_add_u32 s27, s12, s28
	s_addc_u32 s28, s13, s29
	s_waitcnt vmcnt(0)
	ds_write_b128 v32, v[58:61]
	global_load_dwordx4 v[58:61], v[3:4], off
	s_waitcnt vmcnt(0)
	ds_write_b128 v33, v[58:61]
	s_waitcnt lgkmcnt(0)
	s_barrier
	ds_read_b128 v[58:61], v34
	ds_read_b128 v[62:65], v34 offset:4608
	ds_read_b128 v[66:69], v34 offset:9216
	;; [unrolled: 1-line block ×3, first 2 shown]
	ds_read_b128 v[74:77], v23
	ds_read_b128 v[78:81], v23 offset:640
	s_waitcnt lgkmcnt(1)
	;;#ASMSTART
	v_dot2_f32_f16 v18, v58, v74, v18
	;;#ASMEND
	;;#ASMSTART
	v_dot2_f32_f16 v18, v59, v75, v18
	;;#ASMEND
	;; [unrolled: 3-line block ×4, first 2 shown]
	s_waitcnt lgkmcnt(0)
	;;#ASMSTART
	v_dot2_f32_f16 v19, v58, v78, v19
	;;#ASMEND
	;;#ASMSTART
	v_dot2_f32_f16 v19, v59, v79, v19
	;;#ASMEND
	;;#ASMSTART
	v_dot2_f32_f16 v19, v60, v80, v19
	;;#ASMEND
	v_mov_b32_e32 v59, 0
	;;#ASMSTART
	v_dot2_f32_f16 v19, v61, v81, v19
	;;#ASMEND
	;;#ASMSTART
	v_dot2_f32_f16 v59, v62, v74, v59
	;;#ASMEND
	;;#ASMSTART
	v_dot2_f32_f16 v59, v63, v75, v59
	;;#ASMEND
	;;#ASMSTART
	v_dot2_f32_f16 v59, v64, v76, v59
	;;#ASMEND
	v_mov_b32_e32 v58, 0
	;;#ASMSTART
	v_dot2_f32_f16 v59, v65, v77, v59
	;;#ASMEND
	;;#ASMSTART
	v_dot2_f32_f16 v58, v62, v78, v58
	;;#ASMEND
	;;#ASMSTART
	v_dot2_f32_f16 v58, v63, v79, v58
	;;#ASMEND
	;;#ASMSTART
	v_dot2_f32_f16 v58, v64, v80, v58
	;;#ASMEND
	v_mov_b32_e32 v61, 0
	;;#ASMSTART
	v_dot2_f32_f16 v58, v65, v81, v58
	;;#ASMEND
	;;#ASMSTART
	v_dot2_f32_f16 v61, v66, v74, v61
	;;#ASMEND
	;;#ASMSTART
	v_dot2_f32_f16 v61, v67, v75, v61
	;;#ASMEND
	;;#ASMSTART
	v_dot2_f32_f16 v61, v68, v76, v61
	;;#ASMEND
	v_mov_b32_e32 v60, 0
	;;#ASMSTART
	v_dot2_f32_f16 v61, v69, v77, v61
	;;#ASMEND
	;;#ASMSTART
	v_dot2_f32_f16 v60, v66, v78, v60
	;;#ASMEND
	;;#ASMSTART
	v_dot2_f32_f16 v60, v67, v79, v60
	;;#ASMEND
	;;#ASMSTART
	v_dot2_f32_f16 v60, v68, v80, v60
	;;#ASMEND
	v_mov_b32_e32 v63, 0
	;;#ASMSTART
	v_dot2_f32_f16 v60, v69, v81, v60
	;;#ASMEND
	;;#ASMSTART
	v_dot2_f32_f16 v63, v70, v74, v63
	;;#ASMEND
	;;#ASMSTART
	v_dot2_f32_f16 v63, v71, v75, v63
	;;#ASMEND
	;;#ASMSTART
	v_dot2_f32_f16 v63, v72, v76, v63
	;;#ASMEND
	v_mov_b32_e32 v62, 0
	;;#ASMSTART
	v_dot2_f32_f16 v63, v73, v77, v63
	;;#ASMEND
	;;#ASMSTART
	v_dot2_f32_f16 v62, v70, v78, v62
	;;#ASMEND
	;;#ASMSTART
	v_dot2_f32_f16 v62, v71, v79, v62
	;;#ASMEND
	;; [unrolled: 3-line block ×4, first 2 shown]
	ds_read_b128 v[64:67], v34 offset:16
	ds_read_b128 v[68:71], v34 offset:4624
	;; [unrolled: 1-line block ×6, first 2 shown]
	s_waitcnt lgkmcnt(1)
	;;#ASMSTART
	v_dot2_f32_f16 v18, v64, v80, v18
	;;#ASMEND
	;;#ASMSTART
	v_dot2_f32_f16 v18, v65, v81, v18
	;;#ASMEND
	;; [unrolled: 3-line block ×4, first 2 shown]
	s_waitcnt lgkmcnt(0)
	;;#ASMSTART
	v_dot2_f32_f16 v19, v64, v84, v19
	;;#ASMEND
	;;#ASMSTART
	v_dot2_f32_f16 v19, v65, v85, v19
	;;#ASMEND
	;; [unrolled: 3-line block ×28, first 2 shown]
	ds_read_b128 v[64:67], v34 offset:32
	ds_read_b128 v[68:71], v34 offset:4640
	;; [unrolled: 1-line block ×6, first 2 shown]
	s_waitcnt lgkmcnt(1)
	;;#ASMSTART
	v_dot2_f32_f16 v18, v64, v80, v18
	;;#ASMEND
	;;#ASMSTART
	v_dot2_f32_f16 v18, v65, v81, v18
	;;#ASMEND
	;; [unrolled: 3-line block ×4, first 2 shown]
	s_waitcnt lgkmcnt(0)
	;;#ASMSTART
	v_dot2_f32_f16 v19, v64, v84, v19
	;;#ASMEND
	;;#ASMSTART
	v_dot2_f32_f16 v19, v65, v85, v19
	;;#ASMEND
	;; [unrolled: 3-line block ×28, first 2 shown]
	ds_read_b128 v[64:67], v34 offset:48
	ds_read_b128 v[68:71], v34 offset:4656
	;; [unrolled: 1-line block ×6, first 2 shown]
	s_waitcnt lgkmcnt(1)
	;;#ASMSTART
	v_dot2_f32_f16 v18, v64, v80, v18
	;;#ASMEND
	;;#ASMSTART
	v_dot2_f32_f16 v18, v65, v81, v18
	;;#ASMEND
	;; [unrolled: 3-line block ×4, first 2 shown]
	s_waitcnt lgkmcnt(0)
	;;#ASMSTART
	v_dot2_f32_f16 v19, v64, v84, v19
	;;#ASMEND
	;;#ASMSTART
	v_dot2_f32_f16 v19, v65, v85, v19
	;;#ASMEND
	;; [unrolled: 3-line block ×28, first 2 shown]
	ds_read_b128 v[64:67], v34 offset:64
	ds_read_b128 v[68:71], v34 offset:4672
	;; [unrolled: 1-line block ×6, first 2 shown]
	s_waitcnt lgkmcnt(1)
	;;#ASMSTART
	v_dot2_f32_f16 v18, v64, v80, v18
	;;#ASMEND
	;;#ASMSTART
	v_dot2_f32_f16 v18, v65, v81, v18
	;;#ASMEND
	;; [unrolled: 3-line block ×4, first 2 shown]
	s_waitcnt lgkmcnt(0)
	;;#ASMSTART
	v_dot2_f32_f16 v19, v64, v84, v19
	;;#ASMEND
	;;#ASMSTART
	v_dot2_f32_f16 v19, v65, v85, v19
	;;#ASMEND
	;; [unrolled: 3-line block ×28, first 2 shown]
	ds_read_b128 v[64:67], v34 offset:80
	ds_read_b128 v[68:71], v34 offset:4688
	;; [unrolled: 1-line block ×6, first 2 shown]
	s_waitcnt lgkmcnt(1)
	;;#ASMSTART
	v_dot2_f32_f16 v18, v64, v80, v18
	;;#ASMEND
	;;#ASMSTART
	v_dot2_f32_f16 v18, v65, v81, v18
	;;#ASMEND
	;; [unrolled: 3-line block ×4, first 2 shown]
	s_waitcnt lgkmcnt(0)
	;;#ASMSTART
	v_dot2_f32_f16 v19, v64, v84, v19
	;;#ASMEND
	;;#ASMSTART
	v_dot2_f32_f16 v19, v65, v85, v19
	;;#ASMEND
	;; [unrolled: 3-line block ×28, first 2 shown]
	ds_read_b128 v[64:67], v34 offset:96
	ds_read_b128 v[68:71], v34 offset:4704
	;; [unrolled: 1-line block ×6, first 2 shown]
	s_waitcnt lgkmcnt(1)
	;;#ASMSTART
	v_dot2_f32_f16 v18, v64, v80, v18
	;;#ASMEND
	;;#ASMSTART
	v_dot2_f32_f16 v18, v65, v81, v18
	;;#ASMEND
	;; [unrolled: 3-line block ×4, first 2 shown]
	s_waitcnt lgkmcnt(0)
	;;#ASMSTART
	v_dot2_f32_f16 v19, v64, v84, v19
	;;#ASMEND
	;;#ASMSTART
	v_dot2_f32_f16 v19, v65, v85, v19
	;;#ASMEND
	;; [unrolled: 3-line block ×28, first 2 shown]
	ds_read_b128 v[64:67], v34 offset:112
	ds_read_b128 v[68:71], v34 offset:4720
	;; [unrolled: 1-line block ×6, first 2 shown]
	s_waitcnt lgkmcnt(1)
	;;#ASMSTART
	v_dot2_f32_f16 v18, v64, v80, v18
	;;#ASMEND
	;;#ASMSTART
	v_dot2_f32_f16 v18, v65, v81, v18
	;;#ASMEND
	;; [unrolled: 3-line block ×4, first 2 shown]
	s_waitcnt lgkmcnt(0)
	;;#ASMSTART
	v_dot2_f32_f16 v19, v64, v84, v19
	;;#ASMEND
	;;#ASMSTART
	v_dot2_f32_f16 v19, v65, v85, v19
	;;#ASMEND
	;; [unrolled: 3-line block ×28, first 2 shown]
	s_barrier
	global_load_dwordx4 v[64:67], v[1:2], off offset:128
	s_waitcnt vmcnt(0)
	ds_write_b128 v32, v[64:67]
	global_load_dwordx4 v[64:67], v[3:4], off offset:128
	s_waitcnt vmcnt(0)
	ds_write_b128 v33, v[64:67]
	s_waitcnt lgkmcnt(0)
	s_barrier
	ds_read_b128 v[64:67], v34
	ds_read_b128 v[68:71], v34 offset:4608
	ds_read_b128 v[72:75], v34 offset:9216
	;; [unrolled: 1-line block ×5, first 2 shown]
	s_waitcnt lgkmcnt(1)
	;;#ASMSTART
	v_dot2_f32_f16 v18, v64, v80, v18
	;;#ASMEND
	;;#ASMSTART
	v_dot2_f32_f16 v18, v65, v81, v18
	;;#ASMEND
	;; [unrolled: 3-line block ×4, first 2 shown]
	s_waitcnt lgkmcnt(0)
	;;#ASMSTART
	v_dot2_f32_f16 v19, v64, v84, v19
	;;#ASMEND
	;;#ASMSTART
	v_dot2_f32_f16 v19, v65, v85, v19
	;;#ASMEND
	;; [unrolled: 3-line block ×28, first 2 shown]
	ds_read_b128 v[64:67], v34 offset:16
	ds_read_b128 v[68:71], v34 offset:4624
	ds_read_b128 v[72:75], v34 offset:9232
	ds_read_b128 v[76:79], v34 offset:13840
	ds_read_b128 v[80:83], v23 offset:144
	ds_read_b128 v[84:87], v23 offset:784
	s_waitcnt lgkmcnt(1)
	;;#ASMSTART
	v_dot2_f32_f16 v18, v64, v80, v18
	;;#ASMEND
	;;#ASMSTART
	v_dot2_f32_f16 v18, v65, v81, v18
	;;#ASMEND
	;; [unrolled: 3-line block ×4, first 2 shown]
	s_waitcnt lgkmcnt(0)
	;;#ASMSTART
	v_dot2_f32_f16 v19, v64, v84, v19
	;;#ASMEND
	;;#ASMSTART
	v_dot2_f32_f16 v19, v65, v85, v19
	;;#ASMEND
	;; [unrolled: 3-line block ×28, first 2 shown]
	ds_read_b128 v[64:67], v34 offset:32
	ds_read_b128 v[68:71], v34 offset:4640
	;; [unrolled: 1-line block ×6, first 2 shown]
	s_waitcnt lgkmcnt(1)
	;;#ASMSTART
	v_dot2_f32_f16 v18, v64, v80, v18
	;;#ASMEND
	;;#ASMSTART
	v_dot2_f32_f16 v18, v65, v81, v18
	;;#ASMEND
	;; [unrolled: 3-line block ×4, first 2 shown]
	s_waitcnt lgkmcnt(0)
	;;#ASMSTART
	v_dot2_f32_f16 v19, v64, v84, v19
	;;#ASMEND
	;;#ASMSTART
	v_dot2_f32_f16 v19, v65, v85, v19
	;;#ASMEND
	;; [unrolled: 3-line block ×28, first 2 shown]
	ds_read_b128 v[64:67], v34 offset:48
	ds_read_b128 v[68:71], v34 offset:4656
	;; [unrolled: 1-line block ×6, first 2 shown]
	s_waitcnt lgkmcnt(1)
	;;#ASMSTART
	v_dot2_f32_f16 v18, v64, v80, v18
	;;#ASMEND
	;;#ASMSTART
	v_dot2_f32_f16 v18, v65, v81, v18
	;;#ASMEND
	;; [unrolled: 3-line block ×4, first 2 shown]
	s_waitcnt lgkmcnt(0)
	;;#ASMSTART
	v_dot2_f32_f16 v19, v64, v84, v19
	;;#ASMEND
	;;#ASMSTART
	v_dot2_f32_f16 v19, v65, v85, v19
	;;#ASMEND
	;; [unrolled: 3-line block ×28, first 2 shown]
	ds_read_b128 v[64:67], v34 offset:64
	ds_read_b128 v[68:71], v34 offset:4672
	;; [unrolled: 1-line block ×6, first 2 shown]
	s_waitcnt lgkmcnt(1)
	;;#ASMSTART
	v_dot2_f32_f16 v18, v64, v80, v18
	;;#ASMEND
	;;#ASMSTART
	v_dot2_f32_f16 v18, v65, v81, v18
	;;#ASMEND
	;; [unrolled: 3-line block ×4, first 2 shown]
	s_waitcnt lgkmcnt(0)
	;;#ASMSTART
	v_dot2_f32_f16 v19, v64, v84, v19
	;;#ASMEND
	;;#ASMSTART
	v_dot2_f32_f16 v19, v65, v85, v19
	;;#ASMEND
	;; [unrolled: 3-line block ×28, first 2 shown]
	ds_read_b128 v[64:67], v34 offset:80
	ds_read_b128 v[68:71], v34 offset:4688
	;; [unrolled: 1-line block ×6, first 2 shown]
	s_waitcnt lgkmcnt(1)
	;;#ASMSTART
	v_dot2_f32_f16 v18, v64, v80, v18
	;;#ASMEND
	;;#ASMSTART
	v_dot2_f32_f16 v18, v65, v81, v18
	;;#ASMEND
	;; [unrolled: 3-line block ×4, first 2 shown]
	s_waitcnt lgkmcnt(0)
	;;#ASMSTART
	v_dot2_f32_f16 v19, v64, v84, v19
	;;#ASMEND
	;;#ASMSTART
	v_dot2_f32_f16 v19, v65, v85, v19
	;;#ASMEND
	;; [unrolled: 3-line block ×28, first 2 shown]
	ds_read_b128 v[64:67], v34 offset:96
	ds_read_b128 v[68:71], v34 offset:4704
	;; [unrolled: 1-line block ×6, first 2 shown]
	s_waitcnt lgkmcnt(1)
	;;#ASMSTART
	v_dot2_f32_f16 v18, v64, v80, v18
	;;#ASMEND
	;;#ASMSTART
	v_dot2_f32_f16 v18, v65, v81, v18
	;;#ASMEND
	;; [unrolled: 3-line block ×4, first 2 shown]
	s_waitcnt lgkmcnt(0)
	;;#ASMSTART
	v_dot2_f32_f16 v19, v64, v84, v19
	;;#ASMEND
	;;#ASMSTART
	v_dot2_f32_f16 v19, v65, v85, v19
	;;#ASMEND
	;; [unrolled: 3-line block ×28, first 2 shown]
	ds_read_b128 v[64:67], v34 offset:112
	ds_read_b128 v[68:71], v34 offset:4720
	;; [unrolled: 1-line block ×6, first 2 shown]
	s_waitcnt lgkmcnt(1)
	;;#ASMSTART
	v_dot2_f32_f16 v18, v64, v80, v18
	;;#ASMEND
	;;#ASMSTART
	v_dot2_f32_f16 v18, v65, v81, v18
	;;#ASMEND
	;; [unrolled: 3-line block ×4, first 2 shown]
	s_waitcnt lgkmcnt(0)
	;;#ASMSTART
	v_dot2_f32_f16 v19, v64, v84, v19
	;;#ASMEND
	;;#ASMSTART
	v_dot2_f32_f16 v19, v65, v85, v19
	;;#ASMEND
	;; [unrolled: 3-line block ×28, first 2 shown]
	s_barrier
	global_load_dwordx4 v[64:67], v[1:2], off offset:256
	s_waitcnt vmcnt(0)
	ds_write_b128 v32, v[64:67]
	global_load_dwordx4 v[64:67], v[3:4], off offset:256
	s_waitcnt vmcnt(0)
	ds_write_b128 v33, v[64:67]
	s_waitcnt lgkmcnt(0)
	s_barrier
	ds_read_b128 v[64:67], v34
	ds_read_b128 v[68:71], v34 offset:4608
	ds_read_b128 v[72:75], v34 offset:9216
	;; [unrolled: 1-line block ×5, first 2 shown]
	s_waitcnt lgkmcnt(1)
	;;#ASMSTART
	v_dot2_f32_f16 v18, v64, v80, v18
	;;#ASMEND
	;;#ASMSTART
	v_dot2_f32_f16 v18, v65, v81, v18
	;;#ASMEND
	;; [unrolled: 3-line block ×4, first 2 shown]
	s_waitcnt lgkmcnt(0)
	;;#ASMSTART
	v_dot2_f32_f16 v19, v64, v84, v19
	;;#ASMEND
	;;#ASMSTART
	v_dot2_f32_f16 v19, v65, v85, v19
	;;#ASMEND
	;; [unrolled: 3-line block ×28, first 2 shown]
	ds_read_b128 v[64:67], v34 offset:16
	ds_read_b128 v[68:71], v34 offset:4624
	;; [unrolled: 1-line block ×6, first 2 shown]
	s_waitcnt lgkmcnt(1)
	;;#ASMSTART
	v_dot2_f32_f16 v18, v64, v80, v18
	;;#ASMEND
	;;#ASMSTART
	v_dot2_f32_f16 v18, v65, v81, v18
	;;#ASMEND
	;; [unrolled: 3-line block ×4, first 2 shown]
	s_waitcnt lgkmcnt(0)
	;;#ASMSTART
	v_dot2_f32_f16 v19, v64, v84, v19
	;;#ASMEND
	;;#ASMSTART
	v_dot2_f32_f16 v19, v65, v85, v19
	;;#ASMEND
	;;#ASMSTART
	v_dot2_f32_f16 v19, v66, v86, v19
	;;#ASMEND
	;;#ASMSTART
	v_dot2_f32_f16 v19, v67, v87, v19
	;;#ASMEND
	;;#ASMSTART
	v_dot2_f32_f16 v59, v68, v80, v59
	;;#ASMEND
	;;#ASMSTART
	v_dot2_f32_f16 v59, v69, v81, v59
	;;#ASMEND
	;;#ASMSTART
	v_dot2_f32_f16 v59, v70, v82, v59
	;;#ASMEND
	;;#ASMSTART
	v_dot2_f32_f16 v59, v71, v83, v59
	;;#ASMEND
	;;#ASMSTART
	v_dot2_f32_f16 v58, v68, v84, v58
	;;#ASMEND
	;;#ASMSTART
	v_dot2_f32_f16 v58, v69, v85, v58
	;;#ASMEND
	;;#ASMSTART
	v_dot2_f32_f16 v58, v70, v86, v58
	;;#ASMEND
	;;#ASMSTART
	v_dot2_f32_f16 v58, v71, v87, v58
	;;#ASMEND
	;;#ASMSTART
	v_dot2_f32_f16 v61, v72, v80, v61
	;;#ASMEND
	;;#ASMSTART
	v_dot2_f32_f16 v61, v73, v81, v61
	;;#ASMEND
	;;#ASMSTART
	v_dot2_f32_f16 v61, v74, v82, v61
	;;#ASMEND
	;;#ASMSTART
	v_dot2_f32_f16 v61, v75, v83, v61
	;;#ASMEND
	;;#ASMSTART
	v_dot2_f32_f16 v60, v72, v84, v60
	;;#ASMEND
	;;#ASMSTART
	v_dot2_f32_f16 v60, v73, v85, v60
	;;#ASMEND
	;;#ASMSTART
	v_dot2_f32_f16 v60, v74, v86, v60
	;;#ASMEND
	;;#ASMSTART
	v_dot2_f32_f16 v60, v75, v87, v60
	;;#ASMEND
	;;#ASMSTART
	v_dot2_f32_f16 v63, v76, v80, v63
	;;#ASMEND
	;;#ASMSTART
	v_dot2_f32_f16 v63, v77, v81, v63
	;;#ASMEND
	;;#ASMSTART
	v_dot2_f32_f16 v63, v78, v82, v63
	;;#ASMEND
	;;#ASMSTART
	v_dot2_f32_f16 v63, v79, v83, v63
	;;#ASMEND
	;;#ASMSTART
	v_dot2_f32_f16 v62, v76, v84, v62
	;;#ASMEND
	;;#ASMSTART
	v_dot2_f32_f16 v62, v77, v85, v62
	;;#ASMEND
	;;#ASMSTART
	v_dot2_f32_f16 v62, v78, v86, v62
	;;#ASMEND
	;;#ASMSTART
	v_dot2_f32_f16 v62, v79, v87, v62
	;;#ASMEND
	ds_read_b128 v[64:67], v34 offset:32
	ds_read_b128 v[68:71], v34 offset:4640
	;; [unrolled: 1-line block ×6, first 2 shown]
	s_waitcnt lgkmcnt(1)
	;;#ASMSTART
	v_dot2_f32_f16 v18, v64, v80, v18
	;;#ASMEND
	;;#ASMSTART
	v_dot2_f32_f16 v18, v65, v81, v18
	;;#ASMEND
	;; [unrolled: 3-line block ×4, first 2 shown]
	s_waitcnt lgkmcnt(0)
	;;#ASMSTART
	v_dot2_f32_f16 v19, v64, v84, v19
	;;#ASMEND
	;;#ASMSTART
	v_dot2_f32_f16 v19, v65, v85, v19
	;;#ASMEND
	;; [unrolled: 3-line block ×28, first 2 shown]
	ds_read_b128 v[64:67], v34 offset:48
	ds_read_b128 v[68:71], v34 offset:4656
	;; [unrolled: 1-line block ×6, first 2 shown]
	s_waitcnt lgkmcnt(1)
	;;#ASMSTART
	v_dot2_f32_f16 v18, v64, v80, v18
	;;#ASMEND
	;;#ASMSTART
	v_dot2_f32_f16 v18, v65, v81, v18
	;;#ASMEND
	;; [unrolled: 3-line block ×4, first 2 shown]
	s_waitcnt lgkmcnt(0)
	;;#ASMSTART
	v_dot2_f32_f16 v19, v64, v84, v19
	;;#ASMEND
	;;#ASMSTART
	v_dot2_f32_f16 v19, v65, v85, v19
	;;#ASMEND
	;; [unrolled: 3-line block ×28, first 2 shown]
	ds_read_b128 v[64:67], v34 offset:64
	ds_read_b128 v[68:71], v34 offset:4672
	;; [unrolled: 1-line block ×6, first 2 shown]
	s_waitcnt lgkmcnt(1)
	;;#ASMSTART
	v_dot2_f32_f16 v18, v64, v80, v18
	;;#ASMEND
	;;#ASMSTART
	v_dot2_f32_f16 v18, v65, v81, v18
	;;#ASMEND
	;;#ASMSTART
	v_dot2_f32_f16 v18, v66, v82, v18
	;;#ASMEND
	;;#ASMSTART
	v_dot2_f32_f16 v18, v67, v83, v18
	;;#ASMEND
	s_waitcnt lgkmcnt(0)
	;;#ASMSTART
	v_dot2_f32_f16 v19, v64, v84, v19
	;;#ASMEND
	;;#ASMSTART
	v_dot2_f32_f16 v19, v65, v85, v19
	;;#ASMEND
	;; [unrolled: 3-line block ×28, first 2 shown]
	ds_read_b128 v[64:67], v34 offset:80
	ds_read_b128 v[68:71], v34 offset:4688
	;; [unrolled: 1-line block ×6, first 2 shown]
	s_waitcnt lgkmcnt(1)
	;;#ASMSTART
	v_dot2_f32_f16 v18, v64, v80, v18
	;;#ASMEND
	;;#ASMSTART
	v_dot2_f32_f16 v18, v65, v81, v18
	;;#ASMEND
	;; [unrolled: 3-line block ×4, first 2 shown]
	s_waitcnt lgkmcnt(0)
	;;#ASMSTART
	v_dot2_f32_f16 v19, v64, v84, v19
	;;#ASMEND
	;;#ASMSTART
	v_dot2_f32_f16 v19, v65, v85, v19
	;;#ASMEND
	;; [unrolled: 3-line block ×28, first 2 shown]
	ds_read_b128 v[64:67], v34 offset:96
	ds_read_b128 v[68:71], v34 offset:4704
	;; [unrolled: 1-line block ×6, first 2 shown]
	s_waitcnt lgkmcnt(1)
	;;#ASMSTART
	v_dot2_f32_f16 v18, v64, v80, v18
	;;#ASMEND
	;;#ASMSTART
	v_dot2_f32_f16 v18, v65, v81, v18
	;;#ASMEND
	;; [unrolled: 3-line block ×4, first 2 shown]
	s_waitcnt lgkmcnt(0)
	;;#ASMSTART
	v_dot2_f32_f16 v19, v64, v84, v19
	;;#ASMEND
	;;#ASMSTART
	v_dot2_f32_f16 v19, v65, v85, v19
	;;#ASMEND
	;; [unrolled: 3-line block ×28, first 2 shown]
	ds_read_b128 v[64:67], v34 offset:112
	ds_read_b128 v[68:71], v34 offset:4720
	;; [unrolled: 1-line block ×6, first 2 shown]
	s_waitcnt lgkmcnt(1)
	;;#ASMSTART
	v_dot2_f32_f16 v18, v64, v80, v18
	;;#ASMEND
	;;#ASMSTART
	v_dot2_f32_f16 v18, v65, v81, v18
	;;#ASMEND
	;;#ASMSTART
	v_dot2_f32_f16 v18, v66, v82, v18
	;;#ASMEND
	;;#ASMSTART
	v_dot2_f32_f16 v18, v67, v83, v18
	;;#ASMEND
	s_waitcnt lgkmcnt(0)
	;;#ASMSTART
	v_dot2_f32_f16 v19, v64, v84, v19
	;;#ASMEND
	;;#ASMSTART
	v_dot2_f32_f16 v19, v65, v85, v19
	;;#ASMEND
	;;#ASMSTART
	v_dot2_f32_f16 v19, v66, v86, v19
	;;#ASMEND
	;;#ASMSTART
	v_dot2_f32_f16 v19, v67, v87, v19
	;;#ASMEND
	;;#ASMSTART
	v_dot2_f32_f16 v59, v68, v80, v59
	;;#ASMEND
	;;#ASMSTART
	v_dot2_f32_f16 v59, v69, v81, v59
	;;#ASMEND
	;;#ASMSTART
	v_dot2_f32_f16 v59, v70, v82, v59
	;;#ASMEND
	;;#ASMSTART
	v_dot2_f32_f16 v59, v71, v83, v59
	;;#ASMEND
	;;#ASMSTART
	v_dot2_f32_f16 v58, v68, v84, v58
	;;#ASMEND
	;;#ASMSTART
	v_dot2_f32_f16 v58, v69, v85, v58
	;;#ASMEND
	;;#ASMSTART
	v_dot2_f32_f16 v58, v70, v86, v58
	;;#ASMEND
	;;#ASMSTART
	v_dot2_f32_f16 v58, v71, v87, v58
	;;#ASMEND
	;;#ASMSTART
	v_dot2_f32_f16 v61, v72, v80, v61
	;;#ASMEND
	;;#ASMSTART
	v_dot2_f32_f16 v61, v73, v81, v61
	;;#ASMEND
	;;#ASMSTART
	v_dot2_f32_f16 v61, v74, v82, v61
	;;#ASMEND
	;;#ASMSTART
	v_dot2_f32_f16 v61, v75, v83, v61
	;;#ASMEND
	;;#ASMSTART
	v_dot2_f32_f16 v60, v72, v84, v60
	;;#ASMEND
	;;#ASMSTART
	v_dot2_f32_f16 v60, v73, v85, v60
	;;#ASMEND
	;;#ASMSTART
	v_dot2_f32_f16 v60, v74, v86, v60
	;;#ASMEND
	;;#ASMSTART
	v_dot2_f32_f16 v60, v75, v87, v60
	;;#ASMEND
	;;#ASMSTART
	v_dot2_f32_f16 v63, v76, v80, v63
	;;#ASMEND
	;;#ASMSTART
	v_dot2_f32_f16 v63, v77, v81, v63
	;;#ASMEND
	;;#ASMSTART
	v_dot2_f32_f16 v63, v78, v82, v63
	;;#ASMEND
	;;#ASMSTART
	v_dot2_f32_f16 v63, v79, v83, v63
	;;#ASMEND
	;;#ASMSTART
	v_dot2_f32_f16 v62, v76, v84, v62
	;;#ASMEND
	;;#ASMSTART
	v_dot2_f32_f16 v62, v77, v85, v62
	;;#ASMEND
	;;#ASMSTART
	v_dot2_f32_f16 v62, v78, v86, v62
	;;#ASMEND
	;;#ASMSTART
	v_dot2_f32_f16 v62, v79, v87, v62
	;;#ASMEND
	s_barrier
	global_load_dwordx4 v[64:67], v[1:2], off offset:384
	s_waitcnt vmcnt(0)
	ds_write_b128 v32, v[64:67]
	global_load_dwordx4 v[64:67], v[3:4], off offset:384
	s_waitcnt vmcnt(0)
	ds_write_b128 v33, v[64:67]
	s_waitcnt lgkmcnt(0)
	s_barrier
	ds_read_b128 v[64:67], v34
	ds_read_b128 v[68:71], v34 offset:4608
	ds_read_b128 v[72:75], v34 offset:9216
	;; [unrolled: 1-line block ×5, first 2 shown]
	s_waitcnt lgkmcnt(1)
	;;#ASMSTART
	v_dot2_f32_f16 v18, v64, v80, v18
	;;#ASMEND
	;;#ASMSTART
	v_dot2_f32_f16 v18, v65, v81, v18
	;;#ASMEND
	;;#ASMSTART
	v_dot2_f32_f16 v18, v66, v82, v18
	;;#ASMEND
	;;#ASMSTART
	v_dot2_f32_f16 v18, v67, v83, v18
	;;#ASMEND
	s_waitcnt lgkmcnt(0)
	;;#ASMSTART
	v_dot2_f32_f16 v19, v64, v84, v19
	;;#ASMEND
	;;#ASMSTART
	v_dot2_f32_f16 v19, v65, v85, v19
	;;#ASMEND
	;; [unrolled: 3-line block ×28, first 2 shown]
	ds_read_b128 v[64:67], v34 offset:16
	ds_read_b128 v[68:71], v34 offset:4624
	;; [unrolled: 1-line block ×6, first 2 shown]
	s_waitcnt lgkmcnt(1)
	;;#ASMSTART
	v_dot2_f32_f16 v18, v64, v80, v18
	;;#ASMEND
	;;#ASMSTART
	v_dot2_f32_f16 v18, v65, v81, v18
	;;#ASMEND
	;; [unrolled: 3-line block ×4, first 2 shown]
	s_waitcnt lgkmcnt(0)
	;;#ASMSTART
	v_dot2_f32_f16 v19, v64, v84, v19
	;;#ASMEND
	;;#ASMSTART
	v_dot2_f32_f16 v19, v65, v85, v19
	;;#ASMEND
	;; [unrolled: 3-line block ×28, first 2 shown]
	ds_read_b128 v[64:67], v34 offset:32
	ds_read_b128 v[68:71], v34 offset:4640
	;; [unrolled: 1-line block ×6, first 2 shown]
	s_waitcnt lgkmcnt(1)
	;;#ASMSTART
	v_dot2_f32_f16 v18, v64, v80, v18
	;;#ASMEND
	;;#ASMSTART
	v_dot2_f32_f16 v18, v65, v81, v18
	;;#ASMEND
	;; [unrolled: 3-line block ×4, first 2 shown]
	s_waitcnt lgkmcnt(0)
	;;#ASMSTART
	v_dot2_f32_f16 v19, v64, v84, v19
	;;#ASMEND
	;;#ASMSTART
	v_dot2_f32_f16 v19, v65, v85, v19
	;;#ASMEND
	;;#ASMSTART
	v_dot2_f32_f16 v19, v66, v86, v19
	;;#ASMEND
	;;#ASMSTART
	v_dot2_f32_f16 v19, v67, v87, v19
	;;#ASMEND
	;;#ASMSTART
	v_dot2_f32_f16 v59, v68, v80, v59
	;;#ASMEND
	;;#ASMSTART
	v_dot2_f32_f16 v59, v69, v81, v59
	;;#ASMEND
	;;#ASMSTART
	v_dot2_f32_f16 v59, v70, v82, v59
	;;#ASMEND
	;;#ASMSTART
	v_dot2_f32_f16 v59, v71, v83, v59
	;;#ASMEND
	;;#ASMSTART
	v_dot2_f32_f16 v58, v68, v84, v58
	;;#ASMEND
	;;#ASMSTART
	v_dot2_f32_f16 v58, v69, v85, v58
	;;#ASMEND
	;;#ASMSTART
	v_dot2_f32_f16 v58, v70, v86, v58
	;;#ASMEND
	;;#ASMSTART
	v_dot2_f32_f16 v58, v71, v87, v58
	;;#ASMEND
	;;#ASMSTART
	v_dot2_f32_f16 v61, v72, v80, v61
	;;#ASMEND
	;;#ASMSTART
	v_dot2_f32_f16 v61, v73, v81, v61
	;;#ASMEND
	;;#ASMSTART
	v_dot2_f32_f16 v61, v74, v82, v61
	;;#ASMEND
	;;#ASMSTART
	v_dot2_f32_f16 v61, v75, v83, v61
	;;#ASMEND
	;;#ASMSTART
	v_dot2_f32_f16 v60, v72, v84, v60
	;;#ASMEND
	;;#ASMSTART
	v_dot2_f32_f16 v60, v73, v85, v60
	;;#ASMEND
	;;#ASMSTART
	v_dot2_f32_f16 v60, v74, v86, v60
	;;#ASMEND
	;;#ASMSTART
	v_dot2_f32_f16 v60, v75, v87, v60
	;;#ASMEND
	;;#ASMSTART
	v_dot2_f32_f16 v63, v76, v80, v63
	;;#ASMEND
	;;#ASMSTART
	v_dot2_f32_f16 v63, v77, v81, v63
	;;#ASMEND
	;;#ASMSTART
	v_dot2_f32_f16 v63, v78, v82, v63
	;;#ASMEND
	;;#ASMSTART
	v_dot2_f32_f16 v63, v79, v83, v63
	;;#ASMEND
	;;#ASMSTART
	v_dot2_f32_f16 v62, v76, v84, v62
	;;#ASMEND
	;;#ASMSTART
	v_dot2_f32_f16 v62, v77, v85, v62
	;;#ASMEND
	;;#ASMSTART
	v_dot2_f32_f16 v62, v78, v86, v62
	;;#ASMEND
	;;#ASMSTART
	v_dot2_f32_f16 v62, v79, v87, v62
	;;#ASMEND
	ds_read_b128 v[64:67], v34 offset:48
	ds_read_b128 v[68:71], v34 offset:4656
	;; [unrolled: 1-line block ×6, first 2 shown]
	s_waitcnt lgkmcnt(1)
	;;#ASMSTART
	v_dot2_f32_f16 v18, v64, v80, v18
	;;#ASMEND
	;;#ASMSTART
	v_dot2_f32_f16 v18, v65, v81, v18
	;;#ASMEND
	;; [unrolled: 3-line block ×4, first 2 shown]
	s_waitcnt lgkmcnt(0)
	;;#ASMSTART
	v_dot2_f32_f16 v19, v64, v84, v19
	;;#ASMEND
	;;#ASMSTART
	v_dot2_f32_f16 v19, v65, v85, v19
	;;#ASMEND
	;;#ASMSTART
	v_dot2_f32_f16 v19, v66, v86, v19
	;;#ASMEND
	;;#ASMSTART
	v_dot2_f32_f16 v19, v67, v87, v19
	;;#ASMEND
	;;#ASMSTART
	v_dot2_f32_f16 v59, v68, v80, v59
	;;#ASMEND
	;;#ASMSTART
	v_dot2_f32_f16 v59, v69, v81, v59
	;;#ASMEND
	;;#ASMSTART
	v_dot2_f32_f16 v59, v70, v82, v59
	;;#ASMEND
	;;#ASMSTART
	v_dot2_f32_f16 v59, v71, v83, v59
	;;#ASMEND
	;;#ASMSTART
	v_dot2_f32_f16 v58, v68, v84, v58
	;;#ASMEND
	;;#ASMSTART
	v_dot2_f32_f16 v58, v69, v85, v58
	;;#ASMEND
	;;#ASMSTART
	v_dot2_f32_f16 v58, v70, v86, v58
	;;#ASMEND
	;;#ASMSTART
	v_dot2_f32_f16 v58, v71, v87, v58
	;;#ASMEND
	;;#ASMSTART
	v_dot2_f32_f16 v61, v72, v80, v61
	;;#ASMEND
	;;#ASMSTART
	v_dot2_f32_f16 v61, v73, v81, v61
	;;#ASMEND
	;;#ASMSTART
	v_dot2_f32_f16 v61, v74, v82, v61
	;;#ASMEND
	;;#ASMSTART
	v_dot2_f32_f16 v61, v75, v83, v61
	;;#ASMEND
	;;#ASMSTART
	v_dot2_f32_f16 v60, v72, v84, v60
	;;#ASMEND
	;;#ASMSTART
	v_dot2_f32_f16 v60, v73, v85, v60
	;;#ASMEND
	;;#ASMSTART
	v_dot2_f32_f16 v60, v74, v86, v60
	;;#ASMEND
	;;#ASMSTART
	v_dot2_f32_f16 v60, v75, v87, v60
	;;#ASMEND
	;;#ASMSTART
	v_dot2_f32_f16 v63, v76, v80, v63
	;;#ASMEND
	;;#ASMSTART
	v_dot2_f32_f16 v63, v77, v81, v63
	;;#ASMEND
	;;#ASMSTART
	v_dot2_f32_f16 v63, v78, v82, v63
	;;#ASMEND
	;;#ASMSTART
	v_dot2_f32_f16 v63, v79, v83, v63
	;;#ASMEND
	;;#ASMSTART
	v_dot2_f32_f16 v62, v76, v84, v62
	;;#ASMEND
	;;#ASMSTART
	v_dot2_f32_f16 v62, v77, v85, v62
	;;#ASMEND
	;;#ASMSTART
	v_dot2_f32_f16 v62, v78, v86, v62
	;;#ASMEND
	;;#ASMSTART
	v_dot2_f32_f16 v62, v79, v87, v62
	;;#ASMEND
	ds_read_b128 v[64:67], v34 offset:64
	ds_read_b128 v[68:71], v34 offset:4672
	;; [unrolled: 1-line block ×6, first 2 shown]
	s_waitcnt lgkmcnt(1)
	;;#ASMSTART
	v_dot2_f32_f16 v18, v64, v80, v18
	;;#ASMEND
	;;#ASMSTART
	v_dot2_f32_f16 v18, v65, v81, v18
	;;#ASMEND
	;; [unrolled: 3-line block ×4, first 2 shown]
	s_waitcnt lgkmcnt(0)
	;;#ASMSTART
	v_dot2_f32_f16 v19, v64, v84, v19
	;;#ASMEND
	;;#ASMSTART
	v_dot2_f32_f16 v19, v65, v85, v19
	;;#ASMEND
	;; [unrolled: 3-line block ×28, first 2 shown]
	ds_read_b128 v[64:67], v34 offset:80
	ds_read_b128 v[68:71], v34 offset:4688
	;; [unrolled: 1-line block ×6, first 2 shown]
	s_waitcnt lgkmcnt(1)
	;;#ASMSTART
	v_dot2_f32_f16 v18, v64, v80, v18
	;;#ASMEND
	;;#ASMSTART
	v_dot2_f32_f16 v18, v65, v81, v18
	;;#ASMEND
	;; [unrolled: 3-line block ×4, first 2 shown]
	s_waitcnt lgkmcnt(0)
	;;#ASMSTART
	v_dot2_f32_f16 v19, v64, v84, v19
	;;#ASMEND
	;;#ASMSTART
	v_dot2_f32_f16 v19, v65, v85, v19
	;;#ASMEND
	;;#ASMSTART
	v_dot2_f32_f16 v19, v66, v86, v19
	;;#ASMEND
	;;#ASMSTART
	v_dot2_f32_f16 v19, v67, v87, v19
	;;#ASMEND
	;;#ASMSTART
	v_dot2_f32_f16 v59, v68, v80, v59
	;;#ASMEND
	;;#ASMSTART
	v_dot2_f32_f16 v59, v69, v81, v59
	;;#ASMEND
	;;#ASMSTART
	v_dot2_f32_f16 v59, v70, v82, v59
	;;#ASMEND
	;;#ASMSTART
	v_dot2_f32_f16 v59, v71, v83, v59
	;;#ASMEND
	;;#ASMSTART
	v_dot2_f32_f16 v58, v68, v84, v58
	;;#ASMEND
	;;#ASMSTART
	v_dot2_f32_f16 v58, v69, v85, v58
	;;#ASMEND
	;;#ASMSTART
	v_dot2_f32_f16 v58, v70, v86, v58
	;;#ASMEND
	;;#ASMSTART
	v_dot2_f32_f16 v58, v71, v87, v58
	;;#ASMEND
	;;#ASMSTART
	v_dot2_f32_f16 v61, v72, v80, v61
	;;#ASMEND
	;;#ASMSTART
	v_dot2_f32_f16 v61, v73, v81, v61
	;;#ASMEND
	;;#ASMSTART
	v_dot2_f32_f16 v61, v74, v82, v61
	;;#ASMEND
	;;#ASMSTART
	v_dot2_f32_f16 v61, v75, v83, v61
	;;#ASMEND
	;;#ASMSTART
	v_dot2_f32_f16 v60, v72, v84, v60
	;;#ASMEND
	;;#ASMSTART
	v_dot2_f32_f16 v60, v73, v85, v60
	;;#ASMEND
	;;#ASMSTART
	v_dot2_f32_f16 v60, v74, v86, v60
	;;#ASMEND
	;;#ASMSTART
	v_dot2_f32_f16 v60, v75, v87, v60
	;;#ASMEND
	;;#ASMSTART
	v_dot2_f32_f16 v63, v76, v80, v63
	;;#ASMEND
	;;#ASMSTART
	v_dot2_f32_f16 v63, v77, v81, v63
	;;#ASMEND
	;;#ASMSTART
	v_dot2_f32_f16 v63, v78, v82, v63
	;;#ASMEND
	;;#ASMSTART
	v_dot2_f32_f16 v63, v79, v83, v63
	;;#ASMEND
	;;#ASMSTART
	v_dot2_f32_f16 v62, v76, v84, v62
	;;#ASMEND
	;;#ASMSTART
	v_dot2_f32_f16 v62, v77, v85, v62
	;;#ASMEND
	;;#ASMSTART
	v_dot2_f32_f16 v62, v78, v86, v62
	;;#ASMEND
	;;#ASMSTART
	v_dot2_f32_f16 v62, v79, v87, v62
	;;#ASMEND
	ds_read_b128 v[64:67], v34 offset:96
	ds_read_b128 v[68:71], v34 offset:4704
	;; [unrolled: 1-line block ×6, first 2 shown]
	s_waitcnt lgkmcnt(1)
	;;#ASMSTART
	v_dot2_f32_f16 v18, v64, v80, v18
	;;#ASMEND
	;;#ASMSTART
	v_dot2_f32_f16 v18, v65, v81, v18
	;;#ASMEND
	;; [unrolled: 3-line block ×4, first 2 shown]
	s_waitcnt lgkmcnt(0)
	;;#ASMSTART
	v_dot2_f32_f16 v19, v64, v84, v19
	;;#ASMEND
	;;#ASMSTART
	v_dot2_f32_f16 v19, v65, v85, v19
	;;#ASMEND
	;; [unrolled: 3-line block ×28, first 2 shown]
	ds_read_b128 v[64:67], v34 offset:112
	ds_read_b128 v[68:71], v34 offset:4720
	;; [unrolled: 1-line block ×6, first 2 shown]
	s_waitcnt lgkmcnt(1)
	;;#ASMSTART
	v_dot2_f32_f16 v18, v64, v80, v18
	;;#ASMEND
	;;#ASMSTART
	v_dot2_f32_f16 v18, v65, v81, v18
	;;#ASMEND
	;;#ASMSTART
	v_dot2_f32_f16 v18, v66, v82, v18
	;;#ASMEND
	;;#ASMSTART
	v_dot2_f32_f16 v18, v67, v83, v18
	;;#ASMEND
	s_waitcnt lgkmcnt(0)
	;;#ASMSTART
	v_dot2_f32_f16 v19, v64, v84, v19
	;;#ASMEND
	;;#ASMSTART
	v_dot2_f32_f16 v19, v65, v85, v19
	;;#ASMEND
	;;#ASMSTART
	v_dot2_f32_f16 v19, v66, v86, v19
	;;#ASMEND
	;;#ASMSTART
	v_dot2_f32_f16 v19, v67, v87, v19
	;;#ASMEND
	;;#ASMSTART
	v_dot2_f32_f16 v59, v68, v80, v59
	;;#ASMEND
	;;#ASMSTART
	v_dot2_f32_f16 v59, v69, v81, v59
	;;#ASMEND
	;;#ASMSTART
	v_dot2_f32_f16 v59, v70, v82, v59
	;;#ASMEND
	;;#ASMSTART
	v_dot2_f32_f16 v59, v71, v83, v59
	;;#ASMEND
	;;#ASMSTART
	v_dot2_f32_f16 v58, v68, v84, v58
	;;#ASMEND
	;;#ASMSTART
	v_dot2_f32_f16 v58, v69, v85, v58
	;;#ASMEND
	;;#ASMSTART
	v_dot2_f32_f16 v58, v70, v86, v58
	;;#ASMEND
	;;#ASMSTART
	v_dot2_f32_f16 v58, v71, v87, v58
	;;#ASMEND
	;;#ASMSTART
	v_dot2_f32_f16 v61, v72, v80, v61
	;;#ASMEND
	;;#ASMSTART
	v_dot2_f32_f16 v61, v73, v81, v61
	;;#ASMEND
	;;#ASMSTART
	v_dot2_f32_f16 v61, v74, v82, v61
	;;#ASMEND
	;;#ASMSTART
	v_dot2_f32_f16 v61, v75, v83, v61
	;;#ASMEND
	;;#ASMSTART
	v_dot2_f32_f16 v60, v72, v84, v60
	;;#ASMEND
	;;#ASMSTART
	v_dot2_f32_f16 v60, v73, v85, v60
	;;#ASMEND
	;;#ASMSTART
	v_dot2_f32_f16 v60, v74, v86, v60
	;;#ASMEND
	;;#ASMSTART
	v_dot2_f32_f16 v60, v75, v87, v60
	;;#ASMEND
	;;#ASMSTART
	v_dot2_f32_f16 v63, v76, v80, v63
	;;#ASMEND
	;;#ASMSTART
	v_dot2_f32_f16 v63, v77, v81, v63
	;;#ASMEND
	;;#ASMSTART
	v_dot2_f32_f16 v63, v78, v82, v63
	;;#ASMEND
	;;#ASMSTART
	v_dot2_f32_f16 v63, v79, v83, v63
	;;#ASMEND
	;;#ASMSTART
	v_dot2_f32_f16 v62, v76, v84, v62
	;;#ASMEND
	;;#ASMSTART
	v_dot2_f32_f16 v62, v77, v85, v62
	;;#ASMEND
	;;#ASMSTART
	v_dot2_f32_f16 v62, v78, v86, v62
	;;#ASMEND
	;;#ASMSTART
	v_dot2_f32_f16 v62, v79, v87, v62
	;;#ASMEND
	s_barrier
	global_load_dwordx4 v[64:67], v[1:2], off offset:512
	s_waitcnt vmcnt(0)
	ds_write_b128 v32, v[64:67]
	global_load_dwordx4 v[1:4], v[3:4], off offset:512
	s_waitcnt vmcnt(0)
	ds_write_b128 v33, v[1:4]
	s_waitcnt lgkmcnt(0)
	s_barrier
	ds_read_b128 v[1:4], v34
	ds_read_b128 v[64:67], v34 offset:4608
	ds_read_b128 v[68:71], v34 offset:9216
	;; [unrolled: 1-line block ×5, first 2 shown]
	s_waitcnt lgkmcnt(1)
	;;#ASMSTART
	v_dot2_f32_f16 v18, v1, v76, v18
	;;#ASMEND
	;;#ASMSTART
	v_dot2_f32_f16 v18, v2, v77, v18
	;;#ASMEND
	;;#ASMSTART
	v_dot2_f32_f16 v18, v3, v78, v18
	;;#ASMEND
	;;#ASMSTART
	v_dot2_f32_f16 v18, v4, v79, v18
	;;#ASMEND
	s_waitcnt lgkmcnt(0)
	;;#ASMSTART
	v_dot2_f32_f16 v19, v1, v80, v19
	;;#ASMEND
	;;#ASMSTART
	v_dot2_f32_f16 v19, v2, v81, v19
	;;#ASMEND
	;; [unrolled: 3-line block ×28, first 2 shown]
	ds_read_b128 v[1:4], v34 offset:16
	ds_read_b128 v[64:67], v34 offset:4624
	;; [unrolled: 1-line block ×6, first 2 shown]
	s_waitcnt lgkmcnt(1)
	;;#ASMSTART
	v_dot2_f32_f16 v18, v1, v76, v18
	;;#ASMEND
	;;#ASMSTART
	v_dot2_f32_f16 v18, v2, v77, v18
	;;#ASMEND
	;; [unrolled: 3-line block ×4, first 2 shown]
	s_waitcnt lgkmcnt(0)
	;;#ASMSTART
	v_dot2_f32_f16 v19, v1, v80, v19
	;;#ASMEND
	;;#ASMSTART
	v_dot2_f32_f16 v19, v2, v81, v19
	;;#ASMEND
	;;#ASMSTART
	v_dot2_f32_f16 v19, v3, v82, v19
	;;#ASMEND
	;;#ASMSTART
	v_dot2_f32_f16 v19, v4, v83, v19
	;;#ASMEND
	;;#ASMSTART
	v_dot2_f32_f16 v59, v64, v76, v59
	;;#ASMEND
	;;#ASMSTART
	v_dot2_f32_f16 v59, v65, v77, v59
	;;#ASMEND
	;;#ASMSTART
	v_dot2_f32_f16 v59, v66, v78, v59
	;;#ASMEND
	;;#ASMSTART
	v_dot2_f32_f16 v59, v67, v79, v59
	;;#ASMEND
	;;#ASMSTART
	v_dot2_f32_f16 v58, v64, v80, v58
	;;#ASMEND
	;;#ASMSTART
	v_dot2_f32_f16 v58, v65, v81, v58
	;;#ASMEND
	;;#ASMSTART
	v_dot2_f32_f16 v58, v66, v82, v58
	;;#ASMEND
	;;#ASMSTART
	v_dot2_f32_f16 v58, v67, v83, v58
	;;#ASMEND
	;;#ASMSTART
	v_dot2_f32_f16 v61, v68, v76, v61
	;;#ASMEND
	;;#ASMSTART
	v_dot2_f32_f16 v61, v69, v77, v61
	;;#ASMEND
	;;#ASMSTART
	v_dot2_f32_f16 v61, v70, v78, v61
	;;#ASMEND
	;;#ASMSTART
	v_dot2_f32_f16 v61, v71, v79, v61
	;;#ASMEND
	;;#ASMSTART
	v_dot2_f32_f16 v60, v68, v80, v60
	;;#ASMEND
	;;#ASMSTART
	v_dot2_f32_f16 v60, v69, v81, v60
	;;#ASMEND
	;;#ASMSTART
	v_dot2_f32_f16 v60, v70, v82, v60
	;;#ASMEND
	;;#ASMSTART
	v_dot2_f32_f16 v60, v71, v83, v60
	;;#ASMEND
	;;#ASMSTART
	v_dot2_f32_f16 v63, v72, v76, v63
	;;#ASMEND
	;;#ASMSTART
	v_dot2_f32_f16 v63, v73, v77, v63
	;;#ASMEND
	;;#ASMSTART
	v_dot2_f32_f16 v63, v74, v78, v63
	;;#ASMEND
	;;#ASMSTART
	v_dot2_f32_f16 v63, v75, v79, v63
	;;#ASMEND
	;;#ASMSTART
	v_dot2_f32_f16 v62, v72, v80, v62
	;;#ASMEND
	;;#ASMSTART
	v_dot2_f32_f16 v62, v73, v81, v62
	;;#ASMEND
	;;#ASMSTART
	v_dot2_f32_f16 v62, v74, v82, v62
	;;#ASMEND
	;;#ASMSTART
	v_dot2_f32_f16 v62, v75, v83, v62
	;;#ASMEND
	ds_read_b128 v[1:4], v34 offset:32
	ds_read_b128 v[64:67], v34 offset:4640
	;; [unrolled: 1-line block ×6, first 2 shown]
	s_waitcnt lgkmcnt(1)
	;;#ASMSTART
	v_dot2_f32_f16 v18, v1, v76, v18
	;;#ASMEND
	;;#ASMSTART
	v_dot2_f32_f16 v18, v2, v77, v18
	;;#ASMEND
	;; [unrolled: 3-line block ×4, first 2 shown]
	s_waitcnt lgkmcnt(0)
	;;#ASMSTART
	v_dot2_f32_f16 v19, v1, v80, v19
	;;#ASMEND
	;;#ASMSTART
	v_dot2_f32_f16 v19, v2, v81, v19
	;;#ASMEND
	;; [unrolled: 3-line block ×28, first 2 shown]
	ds_read_b128 v[1:4], v34 offset:48
	ds_read_b128 v[64:67], v34 offset:4656
	;; [unrolled: 1-line block ×6, first 2 shown]
	s_waitcnt lgkmcnt(1)
	;;#ASMSTART
	v_dot2_f32_f16 v18, v1, v76, v18
	;;#ASMEND
	;;#ASMSTART
	v_dot2_f32_f16 v18, v2, v77, v18
	;;#ASMEND
	;; [unrolled: 3-line block ×4, first 2 shown]
	s_waitcnt lgkmcnt(0)
	;;#ASMSTART
	v_dot2_f32_f16 v19, v1, v80, v19
	;;#ASMEND
	;;#ASMSTART
	v_dot2_f32_f16 v19, v2, v81, v19
	;;#ASMEND
	;; [unrolled: 3-line block ×28, first 2 shown]
	ds_read_b128 v[1:4], v34 offset:64
	ds_read_b128 v[64:67], v34 offset:4672
	;; [unrolled: 1-line block ×6, first 2 shown]
	s_waitcnt lgkmcnt(1)
	;;#ASMSTART
	v_dot2_f32_f16 v18, v1, v76, v18
	;;#ASMEND
	;;#ASMSTART
	v_dot2_f32_f16 v18, v2, v77, v18
	;;#ASMEND
	;; [unrolled: 3-line block ×4, first 2 shown]
	s_waitcnt lgkmcnt(0)
	;;#ASMSTART
	v_dot2_f32_f16 v19, v1, v80, v19
	;;#ASMEND
	;;#ASMSTART
	v_dot2_f32_f16 v19, v2, v81, v19
	;;#ASMEND
	;; [unrolled: 3-line block ×28, first 2 shown]
	ds_read_b128 v[1:4], v34 offset:80
	ds_read_b128 v[64:67], v34 offset:4688
	;; [unrolled: 1-line block ×6, first 2 shown]
	s_waitcnt lgkmcnt(1)
	;;#ASMSTART
	v_dot2_f32_f16 v18, v1, v76, v18
	;;#ASMEND
	;;#ASMSTART
	v_dot2_f32_f16 v18, v2, v77, v18
	;;#ASMEND
	;; [unrolled: 3-line block ×4, first 2 shown]
	s_waitcnt lgkmcnt(0)
	;;#ASMSTART
	v_dot2_f32_f16 v19, v1, v80, v19
	;;#ASMEND
	;;#ASMSTART
	v_dot2_f32_f16 v19, v2, v81, v19
	;;#ASMEND
	;; [unrolled: 3-line block ×28, first 2 shown]
	ds_read_b128 v[1:4], v34 offset:96
	ds_read_b128 v[64:67], v34 offset:4704
	;; [unrolled: 1-line block ×6, first 2 shown]
	s_waitcnt lgkmcnt(1)
	;;#ASMSTART
	v_dot2_f32_f16 v18, v1, v76, v18
	;;#ASMEND
	;;#ASMSTART
	v_dot2_f32_f16 v18, v2, v77, v18
	;;#ASMEND
	;; [unrolled: 3-line block ×4, first 2 shown]
	s_waitcnt lgkmcnt(0)
	;;#ASMSTART
	v_dot2_f32_f16 v19, v1, v80, v19
	;;#ASMEND
	;;#ASMSTART
	v_dot2_f32_f16 v19, v2, v81, v19
	;;#ASMEND
	;; [unrolled: 3-line block ×28, first 2 shown]
	ds_read_b128 v[1:4], v34 offset:112
	ds_read_b128 v[64:67], v34 offset:4720
	;; [unrolled: 1-line block ×6, first 2 shown]
	s_waitcnt lgkmcnt(1)
	;;#ASMSTART
	v_dot2_f32_f16 v18, v1, v76, v18
	;;#ASMEND
	;;#ASMSTART
	v_dot2_f32_f16 v18, v2, v77, v18
	;;#ASMEND
	;; [unrolled: 3-line block ×4, first 2 shown]
	s_waitcnt lgkmcnt(0)
	;;#ASMSTART
	v_dot2_f32_f16 v19, v1, v80, v19
	;;#ASMEND
	;;#ASMSTART
	v_dot2_f32_f16 v19, v2, v81, v19
	;;#ASMEND
	;; [unrolled: 3-line block ×15, first 2 shown]
	v_cndmask_b32_e32 v2, v24, v30, vcc
	v_cmp_lt_i32_e32 vcc, v29, v25
	;;#ASMSTART
	v_dot2_f32_f16 v61, v71, v79, v61
	;;#ASMEND
	;;#ASMSTART
	v_dot2_f32_f16 v60, v68, v80, v60
	;;#ASMEND
	v_lshlrev_b32_e32 v3, 2, v2
	v_cndmask_b32_e32 v2, v24, v29, vcc
	v_cmp_lt_i32_e32 vcc, v28, v25
	;;#ASMSTART
	v_dot2_f32_f16 v60, v69, v81, v60
	;;#ASMEND
	v_lshlrev_b32_e32 v4, 2, v2
	v_cndmask_b32_e32 v2, v24, v28, vcc
	v_cmp_lt_i32_e32 vcc, v27, v25
	;; [unrolled: 6-line block ×3, first 2 shown]
	;;#ASMSTART
	v_dot2_f32_f16 v60, v71, v83, v60
	;;#ASMEND
	;;#ASMSTART
	v_dot2_f32_f16 v63, v72, v76, v63
	;;#ASMEND
	v_add_u32_e32 v1, s6, v9
	v_lshlrev_b32_e32 v65, 2, v2
	v_cndmask_b32_e32 v2, v24, v26, vcc
	;;#ASMSTART
	v_dot2_f32_f16 v63, v73, v77, v63
	;;#ASMEND
	v_lshlrev_b32_e32 v66, 2, v2
	v_ashrrev_i32_e32 v2, 31, v1
	;;#ASMSTART
	v_dot2_f32_f16 v63, v74, v78, v63
	;;#ASMEND
	v_lshlrev_b64 v[1:2], 1, v[1:2]
	;;#ASMSTART
	v_dot2_f32_f16 v63, v75, v79, v63
	;;#ASMEND
	;;#ASMSTART
	v_dot2_f32_f16 v62, v72, v80, v62
	;;#ASMEND
	;;#ASMSTART
	v_dot2_f32_f16 v62, v73, v81, v62
	;;#ASMEND
	v_add_co_u32_e32 v1, vcc, s26, v1
	;;#ASMSTART
	v_dot2_f32_f16 v62, v74, v82, v62
	;;#ASMEND
	v_addc_co_u32_e32 v2, vcc, v40, v2, vcc
	;;#ASMSTART
	v_dot2_f32_f16 v62, v75, v83, v62
	;;#ASMEND
	global_load_ushort v67, v[1:2], off
	global_load_ushort v69, v[1:2], off offset:64
	s_waitcnt vmcnt(1)
	v_cvt_f32_f16_e32 v67, v67
	s_waitcnt vmcnt(0)
	v_cvt_f32_f16_e32 v69, v69
	v_add_f32_e32 v68, v18, v67
	v_add_f32_e32 v59, v59, v69
	;; [unrolled: 1-line block ×4, first 2 shown]
	v_max3_f32 v18, v51, v18, v70
	global_load_ushort v70, v[1:2], off offset:128
	s_waitcnt vmcnt(0)
	v_cvt_f32_f16_e32 v70, v70
	global_load_ushort v1, v[1:2], off offset:192
	s_waitcnt vmcnt(0)
	s_barrier
	v_add_f32_e32 v61, v61, v70
	v_add_f32_e32 v71, 0x40051340, v61
	v_cvt_f32_f16_e32 v1, v1
	v_add_f32_e32 v2, v63, v1
	v_add_f32_e32 v63, 0x40051340, v2
	v_max3_f32 v18, v18, v71, v63
	ds_bpermute_b32 v63, v3, v18
	v_add_f32_e32 v62, v62, v1
	v_add_f32_e32 v1, 0x40051340, v62
	s_waitcnt lgkmcnt(0)
	v_max_f32_e32 v63, v63, v63
	v_max_f32_e32 v18, v18, v63
	ds_bpermute_b32 v63, v4, v18
	s_waitcnt lgkmcnt(0)
	v_max_f32_e32 v63, v63, v63
	v_max_f32_e32 v18, v18, v63
	ds_bpermute_b32 v63, v64, v18
	;; [unrolled: 4-line block ×4, first 2 shown]
	s_waitcnt lgkmcnt(0)
	v_max_f32_e32 v63, v63, v63
	v_max_f32_e32 v18, v18, v63
	v_add_f32_e32 v63, v19, v67
	v_add_f32_e32 v67, v58, v69
	;; [unrolled: 1-line block ×5, first 2 shown]
	v_max3_f32 v19, v5, v19, v58
	v_add_f32_e32 v58, 0x40051340, v69
	v_max3_f32 v1, v19, v58, v1
	ds_bpermute_b32 v3, v3, v1
	v_sub_f32_e32 v2, v2, v18
	s_waitcnt lgkmcnt(0)
	v_max_f32_e32 v3, v3, v3
	v_max_f32_e32 v1, v1, v3
	ds_bpermute_b32 v3, v4, v1
	s_waitcnt lgkmcnt(0)
	v_max_f32_e32 v3, v3, v3
	v_max_f32_e32 v1, v1, v3
	ds_bpermute_b32 v3, v64, v1
	;; [unrolled: 4-line block ×4, first 2 shown]
	s_waitcnt lgkmcnt(0)
	v_max_f32_e32 v3, v3, v3
	v_max_f32_e32 v19, v1, v3
	v_sub_f32_e32 v3, v68, v18
	v_mul_f32_e32 v4, 0x3fb8aa3b, v3
	v_sub_f32_e32 v1, v51, v18
	v_fma_f32 v51, v3, s14, -v4
	v_rndne_f32_e32 v58, v4
	v_fmac_f32_e32 v51, 0x32a5705f, v3
	v_sub_f32_e32 v4, v4, v58
	v_add_f32_e32 v4, v4, v51
	v_exp_f32_e32 v4, v4
	v_cvt_i32_f32_e32 v51, v58
	v_cmp_ngt_f32_e32 vcc, s15, v3
	v_sub_f32_e32 v64, v5, v19
	v_sub_f32_e32 v5, v63, v19
	v_ldexp_f32 v4, v4, v51
	v_cndmask_b32_e32 v4, 0, v4, vcc
	v_cmp_nlt_f32_e32 vcc, s18, v3
	v_cndmask_b32_e32 v3, v41, v4, vcc
	v_sub_f32_e32 v4, v59, v18
	v_mul_f32_e32 v51, 0x3fb8aa3b, v4
	v_fma_f32 v59, v4, s14, -v51
	v_rndne_f32_e32 v60, v51
	v_fmac_f32_e32 v59, 0x32a5705f, v4
	v_sub_f32_e32 v51, v51, v60
	v_add_f32_e32 v51, v51, v59
	v_exp_f32_e32 v51, v51
	v_cvt_i32_f32_e32 v59, v60
	v_cmp_ngt_f32_e32 vcc, s15, v4
	v_cvt_f16_f32_e32 v58, v3
	v_ldexp_f32 v51, v51, v59
	v_cndmask_b32_e32 v51, 0, v51, vcc
	v_cmp_nlt_f32_e32 vcc, s18, v4
	v_cndmask_b32_e32 v4, v41, v51, vcc
	v_add_f32_e32 v3, v3, v4
	v_cvt_f16_f32_e32 v59, v4
	v_sub_f32_e32 v4, v61, v18
	v_mul_f32_e32 v51, 0x3fb8aa3b, v4
	v_fma_f32 v60, v4, s14, -v51
	v_rndne_f32_e32 v61, v51
	v_fmac_f32_e32 v60, 0x32a5705f, v4
	v_sub_f32_e32 v51, v51, v61
	v_add_f32_e32 v51, v51, v60
	v_exp_f32_e32 v51, v51
	v_cvt_i32_f32_e32 v60, v61
	v_cmp_ngt_f32_e32 vcc, s15, v4
	v_ldexp_f32 v51, v51, v60
	v_cndmask_b32_e32 v51, 0, v51, vcc
	v_cmp_nlt_f32_e32 vcc, s18, v4
	v_cndmask_b32_e32 v4, v41, v51, vcc
	v_add_f32_e32 v3, v4, v3
	v_cvt_f16_f32_e32 v60, v4
	v_mul_f32_e32 v4, 0x3fb8aa3b, v2
	v_fma_f32 v51, v2, s14, -v4
	v_rndne_f32_e32 v61, v4
	v_fmac_f32_e32 v51, 0x32a5705f, v2
	v_sub_f32_e32 v4, v4, v61
	v_add_f32_e32 v4, v4, v51
	v_exp_f32_e32 v4, v4
	v_cvt_i32_f32_e32 v51, v61
	v_cmp_ngt_f32_e32 vcc, s15, v2
	v_ldexp_f32 v4, v4, v51
	v_cndmask_b32_e32 v4, 0, v4, vcc
	v_cmp_nlt_f32_e32 vcc, s18, v2
	v_cndmask_b32_e32 v2, v41, v4, vcc
	v_add_f32_e32 v51, v2, v3
	v_cvt_f16_f32_e32 v61, v2
	v_mul_f32_e32 v2, 0x3fb8aa3b, v1
	v_fma_f32 v3, v1, s14, -v2
	v_rndne_f32_e32 v4, v2
	v_fmac_f32_e32 v3, 0x32a5705f, v1
	v_sub_f32_e32 v2, v2, v4
	v_add_f32_e32 v2, v2, v3
	v_exp_f32_e32 v2, v2
	v_cvt_i32_f32_e32 v3, v4
	v_cmp_ngt_f32_e32 vcc, s15, v1
	v_ldexp_f32 v2, v2, v3
	v_cndmask_b32_e32 v2, 0, v2, vcc
	v_cmp_nlt_f32_e32 vcc, s18, v1
	v_cndmask_b32_e32 v1, v41, v2, vcc
	v_fmac_f32_e32 v51, v6, v1
	v_cvt_f16_f32_e32 v1, v1
	v_mul_f32_e32 v6, 0x3fb8aa3b, v5
	v_cmp_ngt_f32_e32 vcc, s15, v5
	v_mul_u32_u24_e32 v4, 0x10001, v1
	v_pk_mul_f16 v2, v55, v4
	v_pk_mul_f16 v1, v56, v4
	v_fma_f32 v55, v5, s14, -v6
	v_rndne_f32_e32 v56, v6
	v_fmac_f32_e32 v55, 0x32a5705f, v5
	v_sub_f32_e32 v6, v6, v56
	v_add_f32_e32 v6, v6, v55
	v_exp_f32_e32 v6, v6
	v_cvt_i32_f32_e32 v55, v56
	v_pk_mul_f16 v3, v57, v4
	v_ldexp_f32 v6, v6, v55
	v_sub_f32_e32 v55, v67, v19
	v_mul_f32_e32 v56, 0x3fb8aa3b, v55
	v_fma_f32 v57, v55, s14, -v56
	v_rndne_f32_e32 v63, v56
	v_fmac_f32_e32 v57, 0x32a5705f, v55
	v_sub_f32_e32 v56, v56, v63
	v_add_f32_e32 v56, v56, v57
	v_exp_f32_e32 v56, v56
	v_cvt_i32_f32_e32 v57, v63
	v_cndmask_b32_e32 v6, 0, v6, vcc
	v_cmp_nlt_f32_e32 vcc, s18, v5
	v_cndmask_b32_e32 v6, v41, v6, vcc
	v_ldexp_f32 v56, v56, v57
	v_cmp_ngt_f32_e32 vcc, s15, v55
	v_cndmask_b32_e32 v56, 0, v56, vcc
	v_cmp_nlt_f32_e32 vcc, s18, v55
	v_cndmask_b32_e32 v55, v41, v56, vcc
	v_cvt_f16_f32_e32 v5, v6
	v_add_f32_e32 v56, v6, v55
	v_cvt_f16_f32_e32 v6, v55
	v_sub_f32_e32 v55, v69, v19
	v_mul_f32_e32 v57, 0x3fb8aa3b, v55
	v_fma_f32 v63, v55, s14, -v57
	v_rndne_f32_e32 v65, v57
	v_fmac_f32_e32 v63, 0x32a5705f, v55
	v_sub_f32_e32 v57, v57, v65
	v_add_f32_e32 v57, v57, v63
	v_exp_f32_e32 v57, v57
	v_cvt_i32_f32_e32 v63, v65
	v_cmp_ngt_f32_e32 vcc, s15, v55
	v_pack_b32_f16 v5, v58, v5
	v_pack_b32_f16 v6, v59, v6
	v_ldexp_f32 v57, v57, v63
	v_cndmask_b32_e32 v57, 0, v57, vcc
	v_cmp_nlt_f32_e32 vcc, s18, v55
	v_cndmask_b32_e32 v55, v41, v57, vcc
	v_sub_f32_e32 v57, v62, v19
	v_mul_f32_e32 v62, 0x3fb8aa3b, v57
	v_fma_f32 v63, v57, s14, -v62
	v_rndne_f32_e32 v65, v62
	v_fmac_f32_e32 v63, 0x32a5705f, v57
	v_sub_f32_e32 v62, v62, v65
	v_add_f32_e32 v62, v62, v63
	v_exp_f32_e32 v62, v62
	v_cvt_i32_f32_e32 v63, v65
	v_cmp_ngt_f32_e32 vcc, s15, v57
	v_add_f32_e32 v56, v55, v56
	v_cvt_f16_f32_e32 v55, v55
	v_ldexp_f32 v62, v62, v63
	v_cndmask_b32_e32 v62, 0, v62, vcc
	v_cmp_nlt_f32_e32 vcc, s18, v57
	v_cndmask_b32_e32 v62, v41, v62, vcc
	v_add_f32_e32 v57, v62, v56
	v_cvt_f16_f32_e32 v56, v62
	v_mul_f32_e32 v62, 0x3fb8aa3b, v64
	v_fma_f32 v63, v64, s14, -v62
	v_rndne_f32_e32 v65, v62
	v_fmac_f32_e32 v63, 0x32a5705f, v64
	v_sub_f32_e32 v62, v62, v65
	v_add_f32_e32 v62, v62, v63
	v_exp_f32_e32 v62, v62
	v_cvt_i32_f32_e32 v63, v65
	v_cmp_ngt_f32_e32 vcc, s15, v64
	ds_write2_b32 v42, v5, v6 offset1:32
	v_pack_b32_f16 v5, v60, v55
	v_ldexp_f32 v62, v62, v63
	v_cndmask_b32_e32 v62, 0, v62, vcc
	v_cmp_nlt_f32_e32 vcc, s18, v64
	v_cndmask_b32_e32 v62, v41, v62, vcc
	v_mov_b32_e32 v63, v31
	v_mov_b32_e32 v31, v57
	v_cvt_f16_f32_e32 v57, v62
	v_pack_b32_f16 v6, v61, v56
	ds_write2_b32 v42, v5, v6 offset0:64 offset1:96
	v_add_co_u32_e32 v5, vcc, s27, v14
	v_mov_b32_e32 v6, s28
	v_addc_co_u32_e32 v6, vcc, v6, v15, vcc
	v_add_co_u32_e32 v5, vcc, v5, v43
	v_mul_u32_u24_e32 v74, 0x10001, v57
	v_addc_co_u32_e32 v6, vcc, 0, v6, vcc
	v_pk_mul_f16 v75, v54, v74
	global_load_dwordx4 v[54:57], v[5:6], off
	v_add_co_u32_e32 v5, vcc, s27, v16
	v_mov_b32_e32 v6, s28
	v_addc_co_u32_e32 v6, vcc, v6, v17, vcc
	v_add_co_u32_e32 v5, vcc, v5, v43
	v_addc_co_u32_e32 v6, vcc, 0, v6, vcc
	v_fmac_f32_e32 v31, v63, v62
	v_pk_mul_f16 v52, v52, v74
	v_pk_mul_f16 v8, v8, v74
	s_or_b32 s27, s6, 32
	s_mul_hi_i32 s29, s27, s8
	s_mul_i32 s28, s27, s8
	s_lshl_b64 s[28:29], s[28:29], 2
	s_add_u32 s27, s12, s28
	s_addc_u32 s28, s13, s29
	s_waitcnt vmcnt(0)
	ds_write_b128 v36, v[54:57]
	global_load_dwordx4 v[54:57], v[5:6], off
	s_waitcnt vmcnt(0)
	ds_write_b128 v37, v[54:57]
	s_waitcnt lgkmcnt(0)
	s_barrier
	ds_read2_b64 v[54:57], v38 offset1:32
	ds_read_b128 v[58:61], v35
	ds_read_b128 v[62:65], v35 offset:16
	ds_read_b128 v[66:69], v35 offset:32
	;; [unrolled: 1-line block ×3, first 2 shown]
	s_waitcnt lgkmcnt(3)
	v_mul_u32_u24_sdwa v5, v58, s19 dst_sel:DWORD dst_unused:UNUSED_PAD src0_sel:WORD_0 src1_sel:DWORD
	v_mul_u32_u24_sdwa v6, v58, s19 dst_sel:DWORD dst_unused:UNUSED_PAD src0_sel:WORD_1 src1_sel:DWORD
	v_pk_mul_f16 v58, v54, v5
	v_pk_fma_f16 v53, v53, v4, v58
	v_pk_mul_f16 v4, v54, v6
	v_pk_fma_f16 v7, v7, v74, v4
	v_pk_fma_f16 v54, v55, v5, v3
	;; [unrolled: 1-line block ×4, first 2 shown]
	ds_read2_b64 v[1:4], v38 offset0:64 offset1:96
	v_pk_fma_f16 v55, v55, v6, v75
	v_pk_fma_f16 v52, v56, v6, v52
	;; [unrolled: 1-line block ×3, first 2 shown]
	v_mul_u32_u24_sdwa v8, v59, s19 dst_sel:DWORD dst_unused:UNUSED_PAD src0_sel:WORD_0 src1_sel:DWORD
	v_mul_u32_u24_sdwa v56, v59, s19 dst_sel:DWORD dst_unused:UNUSED_PAD src0_sel:WORD_1 src1_sel:DWORD
	s_waitcnt lgkmcnt(0)
	v_pk_fma_f16 v53, v1, v8, v53
	v_pk_fma_f16 v7, v1, v56, v7
	v_pk_fma_f16 v54, v2, v8, v54
	v_pk_fma_f16 v55, v2, v56, v55
	v_pk_fma_f16 v57, v3, v8, v58
	v_pk_fma_f16 v52, v3, v56, v52
	v_pk_fma_f16 v5, v4, v8, v5
	v_pk_fma_f16 v6, v4, v56, v6
	ds_read2_b64 v[1:4], v38 offset0:128 offset1:160
	v_mul_u32_u24_sdwa v8, v60, s19 dst_sel:DWORD dst_unused:UNUSED_PAD src0_sel:WORD_0 src1_sel:DWORD
	v_mul_u32_u24_sdwa v56, v60, s19 dst_sel:DWORD dst_unused:UNUSED_PAD src0_sel:WORD_1 src1_sel:DWORD
	s_waitcnt lgkmcnt(0)
	v_pk_fma_f16 v53, v1, v8, v53
	v_pk_fma_f16 v7, v1, v56, v7
	v_pk_fma_f16 v54, v2, v8, v54
	v_pk_fma_f16 v55, v2, v56, v55
	v_pk_fma_f16 v57, v3, v8, v57
	v_pk_fma_f16 v52, v3, v56, v52
	v_pk_fma_f16 v5, v4, v8, v5
	v_pk_fma_f16 v6, v4, v56, v6
	ds_read2_b64 v[1:4], v38 offset0:192 offset1:224
	v_mul_u32_u24_sdwa v8, v61, s19 dst_sel:DWORD dst_unused:UNUSED_PAD src0_sel:WORD_0 src1_sel:DWORD
	v_mul_u32_u24_sdwa v56, v61, s19 dst_sel:DWORD dst_unused:UNUSED_PAD src0_sel:WORD_1 src1_sel:DWORD
	s_waitcnt lgkmcnt(0)
	v_pk_fma_f16 v53, v1, v8, v53
	v_pk_fma_f16 v7, v1, v56, v7
	v_pk_fma_f16 v54, v2, v8, v54
	v_pk_fma_f16 v55, v2, v56, v55
	v_pk_fma_f16 v57, v3, v8, v57
	v_pk_fma_f16 v52, v3, v56, v52
	v_pk_fma_f16 v5, v4, v8, v5
	v_pk_fma_f16 v6, v4, v56, v6
	ds_read2_b64 v[1:4], v44 offset1:32
	v_mul_u32_u24_sdwa v8, v62, s19 dst_sel:DWORD dst_unused:UNUSED_PAD src0_sel:WORD_0 src1_sel:DWORD
	v_mul_u32_u24_sdwa v56, v62, s19 dst_sel:DWORD dst_unused:UNUSED_PAD src0_sel:WORD_1 src1_sel:DWORD
	s_waitcnt lgkmcnt(0)
	v_pk_fma_f16 v53, v1, v8, v53
	v_pk_fma_f16 v7, v1, v56, v7
	v_pk_fma_f16 v54, v2, v8, v54
	v_pk_fma_f16 v55, v2, v56, v55
	v_pk_fma_f16 v57, v3, v8, v57
	v_pk_fma_f16 v52, v3, v56, v52
	v_pk_fma_f16 v5, v4, v8, v5
	v_pk_fma_f16 v6, v4, v56, v6
	ds_read2_b64 v[1:4], v44 offset0:64 offset1:96
	v_mul_u32_u24_sdwa v8, v63, s19 dst_sel:DWORD dst_unused:UNUSED_PAD src0_sel:WORD_0 src1_sel:DWORD
	v_mul_u32_u24_sdwa v56, v63, s19 dst_sel:DWORD dst_unused:UNUSED_PAD src0_sel:WORD_1 src1_sel:DWORD
	s_waitcnt lgkmcnt(0)
	v_pk_fma_f16 v53, v1, v8, v53
	v_pk_fma_f16 v7, v1, v56, v7
	v_pk_fma_f16 v54, v2, v8, v54
	v_pk_fma_f16 v55, v2, v56, v55
	v_pk_fma_f16 v57, v3, v8, v57
	v_pk_fma_f16 v52, v3, v56, v52
	v_pk_fma_f16 v5, v4, v8, v5
	v_pk_fma_f16 v6, v4, v56, v6
	ds_read2_b64 v[1:4], v44 offset0:128 offset1:160
	v_mul_u32_u24_sdwa v8, v64, s19 dst_sel:DWORD dst_unused:UNUSED_PAD src0_sel:WORD_0 src1_sel:DWORD
	v_mul_u32_u24_sdwa v56, v64, s19 dst_sel:DWORD dst_unused:UNUSED_PAD src0_sel:WORD_1 src1_sel:DWORD
	s_waitcnt lgkmcnt(0)
	v_pk_fma_f16 v53, v1, v8, v53
	v_pk_fma_f16 v7, v1, v56, v7
	v_pk_fma_f16 v54, v2, v8, v54
	v_pk_fma_f16 v55, v2, v56, v55
	v_pk_fma_f16 v57, v3, v8, v57
	v_pk_fma_f16 v52, v3, v56, v52
	v_pk_fma_f16 v5, v4, v8, v5
	v_pk_fma_f16 v6, v4, v56, v6
	ds_read2_b64 v[1:4], v44 offset0:192 offset1:224
	v_mul_u32_u24_sdwa v8, v65, s19 dst_sel:DWORD dst_unused:UNUSED_PAD src0_sel:WORD_0 src1_sel:DWORD
	v_mul_u32_u24_sdwa v56, v65, s19 dst_sel:DWORD dst_unused:UNUSED_PAD src0_sel:WORD_1 src1_sel:DWORD
	s_waitcnt lgkmcnt(0)
	v_pk_fma_f16 v53, v1, v8, v53
	v_pk_fma_f16 v7, v1, v56, v7
	v_pk_fma_f16 v54, v2, v8, v54
	v_pk_fma_f16 v55, v2, v56, v55
	v_pk_fma_f16 v57, v3, v8, v57
	v_pk_fma_f16 v52, v3, v56, v52
	v_pk_fma_f16 v5, v4, v8, v5
	v_pk_fma_f16 v6, v4, v56, v6
	ds_read2_b64 v[1:4], v45 offset1:32
	v_mul_u32_u24_sdwa v8, v66, s19 dst_sel:DWORD dst_unused:UNUSED_PAD src0_sel:WORD_0 src1_sel:DWORD
	v_mul_u32_u24_sdwa v56, v66, s19 dst_sel:DWORD dst_unused:UNUSED_PAD src0_sel:WORD_1 src1_sel:DWORD
	s_waitcnt lgkmcnt(0)
	v_pk_fma_f16 v53, v1, v8, v53
	v_pk_fma_f16 v7, v1, v56, v7
	v_pk_fma_f16 v54, v2, v8, v54
	v_pk_fma_f16 v55, v2, v56, v55
	v_pk_fma_f16 v57, v3, v8, v57
	v_pk_fma_f16 v52, v3, v56, v52
	v_pk_fma_f16 v5, v4, v8, v5
	v_pk_fma_f16 v6, v4, v56, v6
	ds_read2_b64 v[1:4], v45 offset0:64 offset1:96
	;; [unrolled: 48-line block ×3, first 2 shown]
	v_mul_u32_u24_sdwa v8, v71, s19 dst_sel:DWORD dst_unused:UNUSED_PAD src0_sel:WORD_0 src1_sel:DWORD
	v_mul_u32_u24_sdwa v56, v71, s19 dst_sel:DWORD dst_unused:UNUSED_PAD src0_sel:WORD_1 src1_sel:DWORD
	s_waitcnt lgkmcnt(0)
	v_pk_fma_f16 v53, v1, v8, v53
	v_pk_fma_f16 v7, v1, v56, v7
	v_pk_fma_f16 v54, v2, v8, v54
	v_pk_fma_f16 v55, v2, v56, v55
	v_pk_fma_f16 v57, v3, v8, v57
	v_pk_fma_f16 v52, v3, v56, v52
	v_pk_fma_f16 v5, v4, v8, v5
	v_pk_fma_f16 v6, v4, v56, v6
	ds_read2_b64 v[1:4], v46 offset0:128 offset1:160
	v_mul_u32_u24_sdwa v8, v72, s19 dst_sel:DWORD dst_unused:UNUSED_PAD src0_sel:WORD_0 src1_sel:DWORD
	v_mul_u32_u24_sdwa v56, v72, s19 dst_sel:DWORD dst_unused:UNUSED_PAD src0_sel:WORD_1 src1_sel:DWORD
	s_waitcnt lgkmcnt(0)
	v_pk_fma_f16 v53, v1, v8, v53
	v_pk_fma_f16 v7, v1, v56, v7
	v_pk_fma_f16 v54, v2, v8, v54
	v_pk_fma_f16 v55, v2, v56, v55
	v_pk_fma_f16 v57, v3, v8, v57
	v_pk_fma_f16 v52, v3, v56, v52
	v_pk_fma_f16 v5, v4, v8, v5
	v_pk_fma_f16 v6, v4, v56, v6
	ds_read2_b64 v[1:4], v46 offset0:192 offset1:224
	v_mul_u32_u24_sdwa v8, v73, s19 dst_sel:DWORD dst_unused:UNUSED_PAD src0_sel:WORD_0 src1_sel:DWORD
	v_mul_u32_u24_sdwa v56, v73, s19 dst_sel:DWORD dst_unused:UNUSED_PAD src0_sel:WORD_1 src1_sel:DWORD
	s_waitcnt lgkmcnt(0)
	v_pk_fma_f16 v53, v1, v8, v53
	v_pk_fma_f16 v58, v1, v56, v7
	v_pk_fma_f16 v54, v2, v8, v54
	v_pk_fma_f16 v55, v2, v56, v55
	v_pk_fma_f16 v57, v3, v8, v57
	v_pk_fma_f16 v52, v3, v56, v52
	v_pk_fma_f16 v59, v4, v8, v5
	v_pk_fma_f16 v56, v4, v56, v6
	ds_read2_b64 v[1:4], v47 offset1:32
	ds_read_b128 v[5:8], v35 offset:64
	s_waitcnt lgkmcnt(0)
	v_mul_u32_u24_sdwa v60, v5, s19 dst_sel:DWORD dst_unused:UNUSED_PAD src0_sel:WORD_0 src1_sel:DWORD
	v_mul_u32_u24_sdwa v5, v5, s19 dst_sel:DWORD dst_unused:UNUSED_PAD src0_sel:WORD_1 src1_sel:DWORD
	v_pk_fma_f16 v53, v1, v60, v53
	v_pk_fma_f16 v58, v1, v5, v58
	v_pk_fma_f16 v54, v2, v60, v54
	v_pk_fma_f16 v55, v2, v5, v55
	v_pk_fma_f16 v57, v3, v60, v57
	v_pk_fma_f16 v52, v3, v5, v52
	v_pk_fma_f16 v59, v4, v60, v59
	v_pk_fma_f16 v5, v4, v5, v56
	ds_read2_b64 v[1:4], v47 offset0:64 offset1:96
	v_mul_u32_u24_sdwa v56, v6, s19 dst_sel:DWORD dst_unused:UNUSED_PAD src0_sel:WORD_0 src1_sel:DWORD
	v_mul_u32_u24_sdwa v6, v6, s19 dst_sel:DWORD dst_unused:UNUSED_PAD src0_sel:WORD_1 src1_sel:DWORD
	s_waitcnt lgkmcnt(0)
	v_pk_fma_f16 v53, v1, v56, v53
	v_pk_fma_f16 v58, v1, v6, v58
	v_pk_fma_f16 v54, v2, v56, v54
	v_pk_fma_f16 v55, v2, v6, v55
	v_pk_fma_f16 v57, v3, v56, v57
	v_pk_fma_f16 v52, v3, v6, v52
	v_pk_fma_f16 v56, v4, v56, v59
	v_pk_fma_f16 v5, v4, v6, v5
	ds_read2_b64 v[1:4], v47 offset0:128 offset1:160
	v_mul_u32_u24_sdwa v6, v7, s19 dst_sel:DWORD dst_unused:UNUSED_PAD src0_sel:WORD_0 src1_sel:DWORD
	v_mul_u32_u24_sdwa v7, v7, s19 dst_sel:DWORD dst_unused:UNUSED_PAD src0_sel:WORD_1 src1_sel:DWORD
	s_waitcnt lgkmcnt(0)
	v_pk_fma_f16 v53, v1, v6, v53
	v_pk_fma_f16 v58, v1, v7, v58
	v_pk_fma_f16 v54, v2, v6, v54
	v_pk_fma_f16 v55, v2, v7, v55
	v_pk_fma_f16 v57, v3, v6, v57
	v_pk_fma_f16 v52, v3, v7, v52
	v_pk_fma_f16 v6, v4, v6, v56
	v_pk_fma_f16 v5, v4, v7, v5
	ds_read2_b64 v[1:4], v47 offset0:192 offset1:224
	v_mul_u32_u24_sdwa v7, v8, s19 dst_sel:DWORD dst_unused:UNUSED_PAD src0_sel:WORD_0 src1_sel:DWORD
	v_mul_u32_u24_sdwa v8, v8, s19 dst_sel:DWORD dst_unused:UNUSED_PAD src0_sel:WORD_1 src1_sel:DWORD
	s_waitcnt lgkmcnt(0)
	v_pk_fma_f16 v53, v1, v7, v53
	v_pk_fma_f16 v56, v1, v8, v58
	v_pk_fma_f16 v54, v2, v7, v54
	v_pk_fma_f16 v55, v2, v8, v55
	v_pk_fma_f16 v57, v3, v7, v57
	v_pk_fma_f16 v52, v3, v8, v52
	v_pk_fma_f16 v58, v4, v7, v6
	v_pk_fma_f16 v59, v4, v8, v5
	ds_read2_b64 v[1:4], v48 offset1:32
	ds_read_b128 v[5:8], v35 offset:80
	s_waitcnt lgkmcnt(0)
	v_mul_u32_u24_sdwa v60, v5, s19 dst_sel:DWORD dst_unused:UNUSED_PAD src0_sel:WORD_0 src1_sel:DWORD
	v_mul_u32_u24_sdwa v5, v5, s19 dst_sel:DWORD dst_unused:UNUSED_PAD src0_sel:WORD_1 src1_sel:DWORD
	v_pk_fma_f16 v53, v1, v60, v53
	v_pk_fma_f16 v56, v1, v5, v56
	v_pk_fma_f16 v54, v2, v60, v54
	v_pk_fma_f16 v55, v2, v5, v55
	v_pk_fma_f16 v57, v3, v60, v57
	v_pk_fma_f16 v52, v3, v5, v52
	v_pk_fma_f16 v58, v4, v60, v58
	v_pk_fma_f16 v5, v4, v5, v59
	ds_read2_b64 v[1:4], v48 offset0:64 offset1:96
	;; [unrolled: 49-line block ×4, first 2 shown]
	v_mul_u32_u24_sdwa v59, v6, s19 dst_sel:DWORD dst_unused:UNUSED_PAD src0_sel:WORD_0 src1_sel:DWORD
	v_mul_u32_u24_sdwa v6, v6, s19 dst_sel:DWORD dst_unused:UNUSED_PAD src0_sel:WORD_1 src1_sel:DWORD
	s_waitcnt lgkmcnt(0)
	v_pk_fma_f16 v53, v1, v59, v53
	v_pk_fma_f16 v56, v1, v6, v56
	;; [unrolled: 1-line block ×8, first 2 shown]
	ds_read2_b64 v[1:4], v50 offset0:128 offset1:160
	v_mul_u32_u24_sdwa v6, v7, s19 dst_sel:DWORD dst_unused:UNUSED_PAD src0_sel:WORD_0 src1_sel:DWORD
	v_mul_u32_u24_sdwa v7, v7, s19 dst_sel:DWORD dst_unused:UNUSED_PAD src0_sel:WORD_1 src1_sel:DWORD
	s_waitcnt lgkmcnt(0)
	v_pk_fma_f16 v59, v1, v6, v53
	v_pk_fma_f16 v60, v2, v6, v54
	;; [unrolled: 1-line block ×4, first 2 shown]
	ds_read2_b64 v[52:55], v50 offset0:192 offset1:224
	v_pk_fma_f16 v56, v1, v7, v56
	v_pk_fma_f16 v63, v4, v7, v5
	v_mul_u32_u24_sdwa v7, v8, s19 dst_sel:DWORD dst_unused:UNUSED_PAD src0_sel:WORD_0 src1_sel:DWORD
	v_mul_u32_u24_sdwa v8, v8, s19 dst_sel:DWORD dst_unused:UNUSED_PAD src0_sel:WORD_1 src1_sel:DWORD
	v_pk_fma_f16 v57, v3, v6, v57
	v_pk_fma_f16 v58, v4, v6, v58
	s_waitcnt lgkmcnt(0)
	v_pk_fma_f16 v1, v52, v7, v59
	v_pk_fma_f16 v2, v52, v8, v56
	;; [unrolled: 1-line block ×4, first 2 shown]
	v_add_co_u32_e32 v52, vcc, s27, v14
	v_mov_b32_e32 v53, s28
	v_addc_co_u32_e32 v53, vcc, v53, v15, vcc
	v_add_co_u32_e32 v52, vcc, v52, v43
	v_addc_co_u32_e32 v53, vcc, 0, v53, vcc
	v_pk_fma_f16 v5, v54, v7, v57
	v_pk_fma_f16 v6, v54, v8, v62
	;; [unrolled: 1-line block ×4, first 2 shown]
	s_barrier
	global_load_dwordx4 v[52:55], v[52:53], off
	s_waitcnt vmcnt(0)
	ds_write_b128 v36, v[52:55]
	v_add_co_u32_e32 v52, vcc, s27, v16
	v_mov_b32_e32 v53, s28
	v_addc_co_u32_e32 v53, vcc, v53, v17, vcc
	v_add_co_u32_e32 v52, vcc, v52, v43
	v_addc_co_u32_e32 v53, vcc, 0, v53, vcc
	global_load_dwordx4 v[52:55], v[52:53], off
	s_or_b32 s27, s6, 64
	s_mul_hi_i32 s29, s27, s8
	s_mul_i32 s28, s27, s8
	s_lshl_b64 s[28:29], s[28:29], 2
	s_add_u32 s27, s12, s28
	s_addc_u32 s28, s13, s29
	s_waitcnt vmcnt(0)
	ds_write_b128 v37, v[52:55]
	s_waitcnt lgkmcnt(0)
	s_barrier
	ds_read2_b64 v[52:55], v38 offset1:32
	ds_read_b128 v[56:59], v35 offset:128
	ds_read_b128 v[60:63], v35 offset:144
	;; [unrolled: 1-line block ×4, first 2 shown]
	s_waitcnt lgkmcnt(3)
	v_mul_u32_u24_sdwa v72, v56, s19 dst_sel:DWORD dst_unused:UNUSED_PAD src0_sel:WORD_0 src1_sel:DWORD
	v_mul_u32_u24_sdwa v56, v56, s19 dst_sel:DWORD dst_unused:UNUSED_PAD src0_sel:WORD_1 src1_sel:DWORD
	v_pk_fma_f16 v73, v52, v72, v1
	v_pk_fma_f16 v52, v52, v56, v2
	;; [unrolled: 1-line block ×4, first 2 shown]
	ds_read2_b64 v[1:4], v38 offset0:64 offset1:96
	v_pk_fma_f16 v5, v54, v72, v5
	v_pk_fma_f16 v6, v54, v56, v6
	;; [unrolled: 1-line block ×4, first 2 shown]
	v_mul_u32_u24_sdwa v54, v57, s19 dst_sel:DWORD dst_unused:UNUSED_PAD src0_sel:WORD_0 src1_sel:DWORD
	v_mul_u32_u24_sdwa v55, v57, s19 dst_sel:DWORD dst_unused:UNUSED_PAD src0_sel:WORD_1 src1_sel:DWORD
	s_waitcnt lgkmcnt(0)
	v_pk_fma_f16 v56, v1, v54, v73
	v_pk_fma_f16 v52, v1, v55, v52
	v_pk_fma_f16 v57, v2, v54, v74
	v_pk_fma_f16 v53, v2, v55, v53
	v_pk_fma_f16 v5, v3, v54, v5
	v_pk_fma_f16 v6, v3, v55, v6
	v_pk_fma_f16 v7, v4, v54, v7
	v_pk_fma_f16 v8, v4, v55, v8
	ds_read2_b64 v[1:4], v38 offset0:128 offset1:160
	v_mul_u32_u24_sdwa v54, v58, s19 dst_sel:DWORD dst_unused:UNUSED_PAD src0_sel:WORD_0 src1_sel:DWORD
	v_mul_u32_u24_sdwa v55, v58, s19 dst_sel:DWORD dst_unused:UNUSED_PAD src0_sel:WORD_1 src1_sel:DWORD
	s_waitcnt lgkmcnt(0)
	v_pk_fma_f16 v56, v1, v54, v56
	v_pk_fma_f16 v52, v1, v55, v52
	v_pk_fma_f16 v57, v2, v54, v57
	v_pk_fma_f16 v53, v2, v55, v53
	v_pk_fma_f16 v5, v3, v54, v5
	v_pk_fma_f16 v6, v3, v55, v6
	v_pk_fma_f16 v7, v4, v54, v7
	v_pk_fma_f16 v8, v4, v55, v8
	ds_read2_b64 v[1:4], v38 offset0:192 offset1:224
	v_mul_u32_u24_sdwa v54, v59, s19 dst_sel:DWORD dst_unused:UNUSED_PAD src0_sel:WORD_0 src1_sel:DWORD
	v_mul_u32_u24_sdwa v55, v59, s19 dst_sel:DWORD dst_unused:UNUSED_PAD src0_sel:WORD_1 src1_sel:DWORD
	s_waitcnt lgkmcnt(0)
	v_pk_fma_f16 v56, v1, v54, v56
	v_pk_fma_f16 v52, v1, v55, v52
	v_pk_fma_f16 v57, v2, v54, v57
	v_pk_fma_f16 v53, v2, v55, v53
	v_pk_fma_f16 v5, v3, v54, v5
	v_pk_fma_f16 v6, v3, v55, v6
	v_pk_fma_f16 v7, v4, v54, v7
	v_pk_fma_f16 v8, v4, v55, v8
	ds_read2_b64 v[1:4], v44 offset1:32
	v_mul_u32_u24_sdwa v54, v60, s19 dst_sel:DWORD dst_unused:UNUSED_PAD src0_sel:WORD_0 src1_sel:DWORD
	v_mul_u32_u24_sdwa v55, v60, s19 dst_sel:DWORD dst_unused:UNUSED_PAD src0_sel:WORD_1 src1_sel:DWORD
	s_waitcnt lgkmcnt(0)
	v_pk_fma_f16 v56, v1, v54, v56
	v_pk_fma_f16 v52, v1, v55, v52
	v_pk_fma_f16 v57, v2, v54, v57
	v_pk_fma_f16 v53, v2, v55, v53
	v_pk_fma_f16 v5, v3, v54, v5
	v_pk_fma_f16 v6, v3, v55, v6
	v_pk_fma_f16 v7, v4, v54, v7
	v_pk_fma_f16 v8, v4, v55, v8
	ds_read2_b64 v[1:4], v44 offset0:64 offset1:96
	v_mul_u32_u24_sdwa v54, v61, s19 dst_sel:DWORD dst_unused:UNUSED_PAD src0_sel:WORD_0 src1_sel:DWORD
	v_mul_u32_u24_sdwa v55, v61, s19 dst_sel:DWORD dst_unused:UNUSED_PAD src0_sel:WORD_1 src1_sel:DWORD
	s_waitcnt lgkmcnt(0)
	v_pk_fma_f16 v56, v1, v54, v56
	v_pk_fma_f16 v52, v1, v55, v52
	v_pk_fma_f16 v57, v2, v54, v57
	v_pk_fma_f16 v53, v2, v55, v53
	v_pk_fma_f16 v5, v3, v54, v5
	v_pk_fma_f16 v6, v3, v55, v6
	v_pk_fma_f16 v7, v4, v54, v7
	v_pk_fma_f16 v8, v4, v55, v8
	ds_read2_b64 v[1:4], v44 offset0:128 offset1:160
	v_mul_u32_u24_sdwa v54, v62, s19 dst_sel:DWORD dst_unused:UNUSED_PAD src0_sel:WORD_0 src1_sel:DWORD
	v_mul_u32_u24_sdwa v55, v62, s19 dst_sel:DWORD dst_unused:UNUSED_PAD src0_sel:WORD_1 src1_sel:DWORD
	s_waitcnt lgkmcnt(0)
	v_pk_fma_f16 v56, v1, v54, v56
	v_pk_fma_f16 v52, v1, v55, v52
	v_pk_fma_f16 v57, v2, v54, v57
	v_pk_fma_f16 v53, v2, v55, v53
	v_pk_fma_f16 v5, v3, v54, v5
	v_pk_fma_f16 v6, v3, v55, v6
	v_pk_fma_f16 v7, v4, v54, v7
	v_pk_fma_f16 v8, v4, v55, v8
	ds_read2_b64 v[1:4], v44 offset0:192 offset1:224
	v_mul_u32_u24_sdwa v54, v63, s19 dst_sel:DWORD dst_unused:UNUSED_PAD src0_sel:WORD_0 src1_sel:DWORD
	v_mul_u32_u24_sdwa v55, v63, s19 dst_sel:DWORD dst_unused:UNUSED_PAD src0_sel:WORD_1 src1_sel:DWORD
	s_waitcnt lgkmcnt(0)
	v_pk_fma_f16 v56, v1, v54, v56
	v_pk_fma_f16 v52, v1, v55, v52
	v_pk_fma_f16 v57, v2, v54, v57
	v_pk_fma_f16 v53, v2, v55, v53
	v_pk_fma_f16 v5, v3, v54, v5
	v_pk_fma_f16 v6, v3, v55, v6
	v_pk_fma_f16 v7, v4, v54, v7
	v_pk_fma_f16 v8, v4, v55, v8
	ds_read2_b64 v[1:4], v45 offset1:32
	v_mul_u32_u24_sdwa v54, v64, s19 dst_sel:DWORD dst_unused:UNUSED_PAD src0_sel:WORD_0 src1_sel:DWORD
	v_mul_u32_u24_sdwa v55, v64, s19 dst_sel:DWORD dst_unused:UNUSED_PAD src0_sel:WORD_1 src1_sel:DWORD
	s_waitcnt lgkmcnt(0)
	v_pk_fma_f16 v56, v1, v54, v56
	v_pk_fma_f16 v52, v1, v55, v52
	v_pk_fma_f16 v57, v2, v54, v57
	v_pk_fma_f16 v53, v2, v55, v53
	v_pk_fma_f16 v5, v3, v54, v5
	v_pk_fma_f16 v6, v3, v55, v6
	v_pk_fma_f16 v7, v4, v54, v7
	v_pk_fma_f16 v8, v4, v55, v8
	ds_read2_b64 v[1:4], v45 offset0:64 offset1:96
	;; [unrolled: 48-line block ×3, first 2 shown]
	v_mul_u32_u24_sdwa v54, v69, s19 dst_sel:DWORD dst_unused:UNUSED_PAD src0_sel:WORD_0 src1_sel:DWORD
	v_mul_u32_u24_sdwa v55, v69, s19 dst_sel:DWORD dst_unused:UNUSED_PAD src0_sel:WORD_1 src1_sel:DWORD
	s_waitcnt lgkmcnt(0)
	v_pk_fma_f16 v56, v1, v54, v56
	v_pk_fma_f16 v52, v1, v55, v52
	v_pk_fma_f16 v57, v2, v54, v57
	v_pk_fma_f16 v53, v2, v55, v53
	v_pk_fma_f16 v5, v3, v54, v5
	v_pk_fma_f16 v6, v3, v55, v6
	v_pk_fma_f16 v7, v4, v54, v7
	v_pk_fma_f16 v8, v4, v55, v8
	ds_read2_b64 v[1:4], v46 offset0:128 offset1:160
	v_mul_u32_u24_sdwa v54, v70, s19 dst_sel:DWORD dst_unused:UNUSED_PAD src0_sel:WORD_0 src1_sel:DWORD
	v_mul_u32_u24_sdwa v55, v70, s19 dst_sel:DWORD dst_unused:UNUSED_PAD src0_sel:WORD_1 src1_sel:DWORD
	s_waitcnt lgkmcnt(0)
	v_pk_fma_f16 v56, v1, v54, v56
	v_pk_fma_f16 v52, v1, v55, v52
	v_pk_fma_f16 v57, v2, v54, v57
	v_pk_fma_f16 v53, v2, v55, v53
	v_pk_fma_f16 v5, v3, v54, v5
	v_pk_fma_f16 v6, v3, v55, v6
	v_pk_fma_f16 v7, v4, v54, v7
	v_pk_fma_f16 v8, v4, v55, v8
	ds_read2_b64 v[1:4], v46 offset0:192 offset1:224
	v_mul_u32_u24_sdwa v54, v71, s19 dst_sel:DWORD dst_unused:UNUSED_PAD src0_sel:WORD_0 src1_sel:DWORD
	v_mul_u32_u24_sdwa v55, v71, s19 dst_sel:DWORD dst_unused:UNUSED_PAD src0_sel:WORD_1 src1_sel:DWORD
	s_waitcnt lgkmcnt(0)
	v_pk_fma_f16 v56, v1, v54, v56
	v_pk_fma_f16 v52, v1, v55, v52
	v_pk_fma_f16 v57, v2, v54, v57
	v_pk_fma_f16 v53, v2, v55, v53
	v_pk_fma_f16 v58, v3, v54, v5
	v_pk_fma_f16 v59, v3, v55, v6
	v_pk_fma_f16 v54, v4, v54, v7
	v_pk_fma_f16 v55, v4, v55, v8
	ds_read2_b64 v[1:4], v47 offset1:32
	ds_read_b128 v[5:8], v35 offset:192
	s_waitcnt lgkmcnt(0)
	v_mul_u32_u24_sdwa v60, v5, s19 dst_sel:DWORD dst_unused:UNUSED_PAD src0_sel:WORD_0 src1_sel:DWORD
	v_mul_u32_u24_sdwa v5, v5, s19 dst_sel:DWORD dst_unused:UNUSED_PAD src0_sel:WORD_1 src1_sel:DWORD
	v_pk_fma_f16 v56, v1, v60, v56
	v_pk_fma_f16 v52, v1, v5, v52
	v_pk_fma_f16 v57, v2, v60, v57
	v_pk_fma_f16 v53, v2, v5, v53
	v_pk_fma_f16 v58, v3, v60, v58
	v_pk_fma_f16 v59, v3, v5, v59
	v_pk_fma_f16 v54, v4, v60, v54
	v_pk_fma_f16 v5, v4, v5, v55
	ds_read2_b64 v[1:4], v47 offset0:64 offset1:96
	v_mul_u32_u24_sdwa v55, v6, s19 dst_sel:DWORD dst_unused:UNUSED_PAD src0_sel:WORD_0 src1_sel:DWORD
	v_mul_u32_u24_sdwa v6, v6, s19 dst_sel:DWORD dst_unused:UNUSED_PAD src0_sel:WORD_1 src1_sel:DWORD
	s_waitcnt lgkmcnt(0)
	v_pk_fma_f16 v56, v1, v55, v56
	v_pk_fma_f16 v52, v1, v6, v52
	v_pk_fma_f16 v57, v2, v55, v57
	v_pk_fma_f16 v53, v2, v6, v53
	v_pk_fma_f16 v58, v3, v55, v58
	v_pk_fma_f16 v59, v3, v6, v59
	v_pk_fma_f16 v54, v4, v55, v54
	v_pk_fma_f16 v5, v4, v6, v5
	ds_read2_b64 v[1:4], v47 offset0:128 offset1:160
	v_mul_u32_u24_sdwa v6, v7, s19 dst_sel:DWORD dst_unused:UNUSED_PAD src0_sel:WORD_0 src1_sel:DWORD
	v_mul_u32_u24_sdwa v7, v7, s19 dst_sel:DWORD dst_unused:UNUSED_PAD src0_sel:WORD_1 src1_sel:DWORD
	s_waitcnt lgkmcnt(0)
	v_pk_fma_f16 v55, v1, v6, v56
	v_pk_fma_f16 v52, v1, v7, v52
	v_pk_fma_f16 v56, v2, v6, v57
	v_pk_fma_f16 v53, v2, v7, v53
	v_pk_fma_f16 v57, v3, v6, v58
	v_pk_fma_f16 v58, v3, v7, v59
	v_pk_fma_f16 v6, v4, v6, v54
	v_pk_fma_f16 v5, v4, v7, v5
	ds_read2_b64 v[1:4], v47 offset0:192 offset1:224
	v_mul_u32_u24_sdwa v7, v8, s19 dst_sel:DWORD dst_unused:UNUSED_PAD src0_sel:WORD_0 src1_sel:DWORD
	v_mul_u32_u24_sdwa v8, v8, s19 dst_sel:DWORD dst_unused:UNUSED_PAD src0_sel:WORD_1 src1_sel:DWORD
	s_waitcnt lgkmcnt(0)
	v_pk_fma_f16 v54, v1, v7, v55
	v_pk_fma_f16 v52, v1, v8, v52
	v_pk_fma_f16 v55, v2, v7, v56
	v_pk_fma_f16 v53, v2, v8, v53
	v_pk_fma_f16 v56, v3, v7, v57
	v_pk_fma_f16 v57, v3, v8, v58
	v_pk_fma_f16 v58, v4, v7, v6
	v_pk_fma_f16 v59, v4, v8, v5
	ds_read2_b64 v[1:4], v48 offset1:32
	ds_read_b128 v[5:8], v35 offset:208
	s_waitcnt lgkmcnt(0)
	v_mul_u32_u24_sdwa v60, v5, s19 dst_sel:DWORD dst_unused:UNUSED_PAD src0_sel:WORD_0 src1_sel:DWORD
	v_mul_u32_u24_sdwa v5, v5, s19 dst_sel:DWORD dst_unused:UNUSED_PAD src0_sel:WORD_1 src1_sel:DWORD
	v_pk_fma_f16 v54, v1, v60, v54
	v_pk_fma_f16 v52, v1, v5, v52
	v_pk_fma_f16 v55, v2, v60, v55
	v_pk_fma_f16 v53, v2, v5, v53
	v_pk_fma_f16 v56, v3, v60, v56
	v_pk_fma_f16 v57, v3, v5, v57
	v_pk_fma_f16 v58, v4, v60, v58
	v_pk_fma_f16 v5, v4, v5, v59
	ds_read2_b64 v[1:4], v48 offset0:64 offset1:96
	;; [unrolled: 49-line block ×4, first 2 shown]
	v_mul_u32_u24_sdwa v59, v6, s19 dst_sel:DWORD dst_unused:UNUSED_PAD src0_sel:WORD_0 src1_sel:DWORD
	v_mul_u32_u24_sdwa v6, v6, s19 dst_sel:DWORD dst_unused:UNUSED_PAD src0_sel:WORD_1 src1_sel:DWORD
	s_waitcnt lgkmcnt(0)
	v_pk_fma_f16 v54, v1, v59, v54
	v_pk_fma_f16 v52, v1, v6, v52
	;; [unrolled: 1-line block ×8, first 2 shown]
	ds_read2_b64 v[1:4], v50 offset0:128 offset1:160
	v_mul_u32_u24_sdwa v6, v7, s19 dst_sel:DWORD dst_unused:UNUSED_PAD src0_sel:WORD_0 src1_sel:DWORD
	v_mul_u32_u24_sdwa v7, v7, s19 dst_sel:DWORD dst_unused:UNUSED_PAD src0_sel:WORD_1 src1_sel:DWORD
	s_waitcnt lgkmcnt(0)
	v_pk_fma_f16 v59, v1, v6, v54
	v_pk_fma_f16 v60, v1, v7, v52
	;; [unrolled: 1-line block ×4, first 2 shown]
	ds_read2_b64 v[52:55], v50 offset0:192 offset1:224
	v_pk_fma_f16 v57, v3, v7, v57
	v_pk_fma_f16 v63, v4, v7, v5
	v_mul_u32_u24_sdwa v7, v8, s19 dst_sel:DWORD dst_unused:UNUSED_PAD src0_sel:WORD_0 src1_sel:DWORD
	v_mul_u32_u24_sdwa v8, v8, s19 dst_sel:DWORD dst_unused:UNUSED_PAD src0_sel:WORD_1 src1_sel:DWORD
	v_pk_fma_f16 v56, v3, v6, v56
	v_pk_fma_f16 v58, v4, v6, v58
	s_waitcnt lgkmcnt(0)
	v_pk_fma_f16 v1, v52, v7, v59
	v_pk_fma_f16 v2, v52, v8, v60
	;; [unrolled: 1-line block ×4, first 2 shown]
	v_add_co_u32_e32 v52, vcc, s27, v14
	v_mov_b32_e32 v53, s28
	v_addc_co_u32_e32 v53, vcc, v53, v15, vcc
	v_add_co_u32_e32 v52, vcc, v52, v43
	v_addc_co_u32_e32 v53, vcc, 0, v53, vcc
	v_pk_fma_f16 v5, v54, v7, v56
	v_pk_fma_f16 v6, v54, v8, v57
	;; [unrolled: 1-line block ×4, first 2 shown]
	s_barrier
	global_load_dwordx4 v[52:55], v[52:53], off
	s_waitcnt vmcnt(0)
	ds_write_b128 v36, v[52:55]
	v_add_co_u32_e32 v52, vcc, s27, v16
	v_mov_b32_e32 v53, s28
	v_addc_co_u32_e32 v53, vcc, v53, v17, vcc
	v_add_co_u32_e32 v52, vcc, v52, v43
	v_addc_co_u32_e32 v53, vcc, 0, v53, vcc
	global_load_dwordx4 v[52:55], v[52:53], off
	s_or_b32 s27, s6, 0x60
	s_mul_hi_i32 s29, s27, s8
	s_mul_i32 s28, s27, s8
	s_lshl_b64 s[28:29], s[28:29], 2
	s_add_u32 s27, s12, s28
	s_addc_u32 s28, s13, s29
	s_waitcnt vmcnt(0)
	ds_write_b128 v37, v[52:55]
	s_waitcnt lgkmcnt(0)
	s_barrier
	ds_read2_b64 v[52:55], v38 offset1:32
	ds_read_b128 v[56:59], v35 offset:256
	ds_read_b128 v[60:63], v35 offset:272
	;; [unrolled: 1-line block ×4, first 2 shown]
	s_waitcnt lgkmcnt(3)
	v_mul_u32_u24_sdwa v72, v56, s19 dst_sel:DWORD dst_unused:UNUSED_PAD src0_sel:WORD_0 src1_sel:DWORD
	v_mul_u32_u24_sdwa v56, v56, s19 dst_sel:DWORD dst_unused:UNUSED_PAD src0_sel:WORD_1 src1_sel:DWORD
	v_pk_fma_f16 v73, v52, v72, v1
	v_pk_fma_f16 v52, v52, v56, v2
	;; [unrolled: 1-line block ×4, first 2 shown]
	ds_read2_b64 v[1:4], v38 offset0:64 offset1:96
	v_pk_fma_f16 v5, v54, v72, v5
	v_pk_fma_f16 v6, v54, v56, v6
	;; [unrolled: 1-line block ×4, first 2 shown]
	v_mul_u32_u24_sdwa v54, v57, s19 dst_sel:DWORD dst_unused:UNUSED_PAD src0_sel:WORD_0 src1_sel:DWORD
	v_mul_u32_u24_sdwa v55, v57, s19 dst_sel:DWORD dst_unused:UNUSED_PAD src0_sel:WORD_1 src1_sel:DWORD
	s_waitcnt lgkmcnt(0)
	v_pk_fma_f16 v56, v1, v54, v73
	v_pk_fma_f16 v52, v1, v55, v52
	v_pk_fma_f16 v57, v2, v54, v74
	v_pk_fma_f16 v53, v2, v55, v53
	v_pk_fma_f16 v5, v3, v54, v5
	v_pk_fma_f16 v6, v3, v55, v6
	v_pk_fma_f16 v7, v4, v54, v7
	v_pk_fma_f16 v8, v4, v55, v8
	ds_read2_b64 v[1:4], v38 offset0:128 offset1:160
	v_mul_u32_u24_sdwa v54, v58, s19 dst_sel:DWORD dst_unused:UNUSED_PAD src0_sel:WORD_0 src1_sel:DWORD
	v_mul_u32_u24_sdwa v55, v58, s19 dst_sel:DWORD dst_unused:UNUSED_PAD src0_sel:WORD_1 src1_sel:DWORD
	s_waitcnt lgkmcnt(0)
	v_pk_fma_f16 v56, v1, v54, v56
	v_pk_fma_f16 v52, v1, v55, v52
	v_pk_fma_f16 v57, v2, v54, v57
	v_pk_fma_f16 v53, v2, v55, v53
	v_pk_fma_f16 v5, v3, v54, v5
	v_pk_fma_f16 v6, v3, v55, v6
	v_pk_fma_f16 v7, v4, v54, v7
	v_pk_fma_f16 v8, v4, v55, v8
	ds_read2_b64 v[1:4], v38 offset0:192 offset1:224
	v_mul_u32_u24_sdwa v54, v59, s19 dst_sel:DWORD dst_unused:UNUSED_PAD src0_sel:WORD_0 src1_sel:DWORD
	v_mul_u32_u24_sdwa v55, v59, s19 dst_sel:DWORD dst_unused:UNUSED_PAD src0_sel:WORD_1 src1_sel:DWORD
	s_waitcnt lgkmcnt(0)
	v_pk_fma_f16 v56, v1, v54, v56
	v_pk_fma_f16 v52, v1, v55, v52
	v_pk_fma_f16 v57, v2, v54, v57
	v_pk_fma_f16 v53, v2, v55, v53
	v_pk_fma_f16 v5, v3, v54, v5
	v_pk_fma_f16 v6, v3, v55, v6
	v_pk_fma_f16 v7, v4, v54, v7
	v_pk_fma_f16 v8, v4, v55, v8
	ds_read2_b64 v[1:4], v44 offset1:32
	v_mul_u32_u24_sdwa v54, v60, s19 dst_sel:DWORD dst_unused:UNUSED_PAD src0_sel:WORD_0 src1_sel:DWORD
	v_mul_u32_u24_sdwa v55, v60, s19 dst_sel:DWORD dst_unused:UNUSED_PAD src0_sel:WORD_1 src1_sel:DWORD
	s_waitcnt lgkmcnt(0)
	v_pk_fma_f16 v56, v1, v54, v56
	v_pk_fma_f16 v52, v1, v55, v52
	v_pk_fma_f16 v57, v2, v54, v57
	v_pk_fma_f16 v53, v2, v55, v53
	v_pk_fma_f16 v5, v3, v54, v5
	v_pk_fma_f16 v6, v3, v55, v6
	v_pk_fma_f16 v7, v4, v54, v7
	v_pk_fma_f16 v8, v4, v55, v8
	ds_read2_b64 v[1:4], v44 offset0:64 offset1:96
	v_mul_u32_u24_sdwa v54, v61, s19 dst_sel:DWORD dst_unused:UNUSED_PAD src0_sel:WORD_0 src1_sel:DWORD
	v_mul_u32_u24_sdwa v55, v61, s19 dst_sel:DWORD dst_unused:UNUSED_PAD src0_sel:WORD_1 src1_sel:DWORD
	s_waitcnt lgkmcnt(0)
	v_pk_fma_f16 v56, v1, v54, v56
	v_pk_fma_f16 v52, v1, v55, v52
	v_pk_fma_f16 v57, v2, v54, v57
	v_pk_fma_f16 v53, v2, v55, v53
	v_pk_fma_f16 v5, v3, v54, v5
	v_pk_fma_f16 v6, v3, v55, v6
	v_pk_fma_f16 v7, v4, v54, v7
	v_pk_fma_f16 v8, v4, v55, v8
	ds_read2_b64 v[1:4], v44 offset0:128 offset1:160
	v_mul_u32_u24_sdwa v54, v62, s19 dst_sel:DWORD dst_unused:UNUSED_PAD src0_sel:WORD_0 src1_sel:DWORD
	v_mul_u32_u24_sdwa v55, v62, s19 dst_sel:DWORD dst_unused:UNUSED_PAD src0_sel:WORD_1 src1_sel:DWORD
	s_waitcnt lgkmcnt(0)
	v_pk_fma_f16 v56, v1, v54, v56
	v_pk_fma_f16 v52, v1, v55, v52
	v_pk_fma_f16 v57, v2, v54, v57
	v_pk_fma_f16 v53, v2, v55, v53
	v_pk_fma_f16 v5, v3, v54, v5
	v_pk_fma_f16 v6, v3, v55, v6
	v_pk_fma_f16 v7, v4, v54, v7
	v_pk_fma_f16 v8, v4, v55, v8
	ds_read2_b64 v[1:4], v44 offset0:192 offset1:224
	v_mul_u32_u24_sdwa v54, v63, s19 dst_sel:DWORD dst_unused:UNUSED_PAD src0_sel:WORD_0 src1_sel:DWORD
	v_mul_u32_u24_sdwa v55, v63, s19 dst_sel:DWORD dst_unused:UNUSED_PAD src0_sel:WORD_1 src1_sel:DWORD
	s_waitcnt lgkmcnt(0)
	v_pk_fma_f16 v56, v1, v54, v56
	v_pk_fma_f16 v52, v1, v55, v52
	v_pk_fma_f16 v57, v2, v54, v57
	v_pk_fma_f16 v53, v2, v55, v53
	v_pk_fma_f16 v5, v3, v54, v5
	v_pk_fma_f16 v6, v3, v55, v6
	v_pk_fma_f16 v7, v4, v54, v7
	v_pk_fma_f16 v8, v4, v55, v8
	ds_read2_b64 v[1:4], v45 offset1:32
	v_mul_u32_u24_sdwa v54, v64, s19 dst_sel:DWORD dst_unused:UNUSED_PAD src0_sel:WORD_0 src1_sel:DWORD
	v_mul_u32_u24_sdwa v55, v64, s19 dst_sel:DWORD dst_unused:UNUSED_PAD src0_sel:WORD_1 src1_sel:DWORD
	s_waitcnt lgkmcnt(0)
	v_pk_fma_f16 v56, v1, v54, v56
	v_pk_fma_f16 v52, v1, v55, v52
	v_pk_fma_f16 v57, v2, v54, v57
	v_pk_fma_f16 v53, v2, v55, v53
	v_pk_fma_f16 v5, v3, v54, v5
	v_pk_fma_f16 v6, v3, v55, v6
	v_pk_fma_f16 v7, v4, v54, v7
	v_pk_fma_f16 v8, v4, v55, v8
	ds_read2_b64 v[1:4], v45 offset0:64 offset1:96
	;; [unrolled: 48-line block ×3, first 2 shown]
	v_mul_u32_u24_sdwa v54, v69, s19 dst_sel:DWORD dst_unused:UNUSED_PAD src0_sel:WORD_0 src1_sel:DWORD
	v_mul_u32_u24_sdwa v55, v69, s19 dst_sel:DWORD dst_unused:UNUSED_PAD src0_sel:WORD_1 src1_sel:DWORD
	s_waitcnt lgkmcnt(0)
	v_pk_fma_f16 v56, v1, v54, v56
	v_pk_fma_f16 v52, v1, v55, v52
	v_pk_fma_f16 v57, v2, v54, v57
	v_pk_fma_f16 v53, v2, v55, v53
	v_pk_fma_f16 v5, v3, v54, v5
	v_pk_fma_f16 v6, v3, v55, v6
	v_pk_fma_f16 v7, v4, v54, v7
	v_pk_fma_f16 v8, v4, v55, v8
	ds_read2_b64 v[1:4], v46 offset0:128 offset1:160
	v_mul_u32_u24_sdwa v54, v70, s19 dst_sel:DWORD dst_unused:UNUSED_PAD src0_sel:WORD_0 src1_sel:DWORD
	v_mul_u32_u24_sdwa v55, v70, s19 dst_sel:DWORD dst_unused:UNUSED_PAD src0_sel:WORD_1 src1_sel:DWORD
	s_waitcnt lgkmcnt(0)
	v_pk_fma_f16 v56, v1, v54, v56
	v_pk_fma_f16 v52, v1, v55, v52
	v_pk_fma_f16 v57, v2, v54, v57
	v_pk_fma_f16 v53, v2, v55, v53
	v_pk_fma_f16 v5, v3, v54, v5
	v_pk_fma_f16 v6, v3, v55, v6
	v_pk_fma_f16 v7, v4, v54, v7
	v_pk_fma_f16 v8, v4, v55, v8
	ds_read2_b64 v[1:4], v46 offset0:192 offset1:224
	v_mul_u32_u24_sdwa v54, v71, s19 dst_sel:DWORD dst_unused:UNUSED_PAD src0_sel:WORD_0 src1_sel:DWORD
	v_mul_u32_u24_sdwa v55, v71, s19 dst_sel:DWORD dst_unused:UNUSED_PAD src0_sel:WORD_1 src1_sel:DWORD
	s_waitcnt lgkmcnt(0)
	v_pk_fma_f16 v56, v1, v54, v56
	v_pk_fma_f16 v52, v1, v55, v52
	v_pk_fma_f16 v57, v2, v54, v57
	v_pk_fma_f16 v53, v2, v55, v53
	v_pk_fma_f16 v58, v3, v54, v5
	v_pk_fma_f16 v59, v3, v55, v6
	v_pk_fma_f16 v54, v4, v54, v7
	v_pk_fma_f16 v55, v4, v55, v8
	ds_read2_b64 v[1:4], v47 offset1:32
	ds_read_b128 v[5:8], v35 offset:320
	s_waitcnt lgkmcnt(0)
	v_mul_u32_u24_sdwa v60, v5, s19 dst_sel:DWORD dst_unused:UNUSED_PAD src0_sel:WORD_0 src1_sel:DWORD
	v_mul_u32_u24_sdwa v5, v5, s19 dst_sel:DWORD dst_unused:UNUSED_PAD src0_sel:WORD_1 src1_sel:DWORD
	v_pk_fma_f16 v56, v1, v60, v56
	v_pk_fma_f16 v52, v1, v5, v52
	v_pk_fma_f16 v57, v2, v60, v57
	v_pk_fma_f16 v53, v2, v5, v53
	v_pk_fma_f16 v58, v3, v60, v58
	v_pk_fma_f16 v59, v3, v5, v59
	v_pk_fma_f16 v54, v4, v60, v54
	v_pk_fma_f16 v5, v4, v5, v55
	ds_read2_b64 v[1:4], v47 offset0:64 offset1:96
	v_mul_u32_u24_sdwa v55, v6, s19 dst_sel:DWORD dst_unused:UNUSED_PAD src0_sel:WORD_0 src1_sel:DWORD
	v_mul_u32_u24_sdwa v6, v6, s19 dst_sel:DWORD dst_unused:UNUSED_PAD src0_sel:WORD_1 src1_sel:DWORD
	s_waitcnt lgkmcnt(0)
	v_pk_fma_f16 v56, v1, v55, v56
	v_pk_fma_f16 v52, v1, v6, v52
	v_pk_fma_f16 v57, v2, v55, v57
	v_pk_fma_f16 v53, v2, v6, v53
	v_pk_fma_f16 v58, v3, v55, v58
	v_pk_fma_f16 v59, v3, v6, v59
	v_pk_fma_f16 v54, v4, v55, v54
	v_pk_fma_f16 v5, v4, v6, v5
	ds_read2_b64 v[1:4], v47 offset0:128 offset1:160
	v_mul_u32_u24_sdwa v6, v7, s19 dst_sel:DWORD dst_unused:UNUSED_PAD src0_sel:WORD_0 src1_sel:DWORD
	v_mul_u32_u24_sdwa v7, v7, s19 dst_sel:DWORD dst_unused:UNUSED_PAD src0_sel:WORD_1 src1_sel:DWORD
	s_waitcnt lgkmcnt(0)
	v_pk_fma_f16 v55, v1, v6, v56
	v_pk_fma_f16 v52, v1, v7, v52
	v_pk_fma_f16 v56, v2, v6, v57
	v_pk_fma_f16 v53, v2, v7, v53
	v_pk_fma_f16 v57, v3, v6, v58
	v_pk_fma_f16 v58, v3, v7, v59
	v_pk_fma_f16 v6, v4, v6, v54
	v_pk_fma_f16 v5, v4, v7, v5
	ds_read2_b64 v[1:4], v47 offset0:192 offset1:224
	v_mul_u32_u24_sdwa v7, v8, s19 dst_sel:DWORD dst_unused:UNUSED_PAD src0_sel:WORD_0 src1_sel:DWORD
	v_mul_u32_u24_sdwa v8, v8, s19 dst_sel:DWORD dst_unused:UNUSED_PAD src0_sel:WORD_1 src1_sel:DWORD
	s_waitcnt lgkmcnt(0)
	v_pk_fma_f16 v54, v1, v7, v55
	v_pk_fma_f16 v52, v1, v8, v52
	v_pk_fma_f16 v55, v2, v7, v56
	v_pk_fma_f16 v53, v2, v8, v53
	v_pk_fma_f16 v56, v3, v7, v57
	v_pk_fma_f16 v57, v3, v8, v58
	v_pk_fma_f16 v58, v4, v7, v6
	v_pk_fma_f16 v59, v4, v8, v5
	ds_read2_b64 v[1:4], v48 offset1:32
	ds_read_b128 v[5:8], v35 offset:336
	s_waitcnt lgkmcnt(0)
	v_mul_u32_u24_sdwa v60, v5, s19 dst_sel:DWORD dst_unused:UNUSED_PAD src0_sel:WORD_0 src1_sel:DWORD
	v_mul_u32_u24_sdwa v5, v5, s19 dst_sel:DWORD dst_unused:UNUSED_PAD src0_sel:WORD_1 src1_sel:DWORD
	v_pk_fma_f16 v54, v1, v60, v54
	v_pk_fma_f16 v52, v1, v5, v52
	v_pk_fma_f16 v55, v2, v60, v55
	v_pk_fma_f16 v53, v2, v5, v53
	v_pk_fma_f16 v56, v3, v60, v56
	v_pk_fma_f16 v57, v3, v5, v57
	v_pk_fma_f16 v58, v4, v60, v58
	v_pk_fma_f16 v5, v4, v5, v59
	ds_read2_b64 v[1:4], v48 offset0:64 offset1:96
	;; [unrolled: 49-line block ×4, first 2 shown]
	v_mul_u32_u24_sdwa v59, v6, s19 dst_sel:DWORD dst_unused:UNUSED_PAD src0_sel:WORD_0 src1_sel:DWORD
	v_mul_u32_u24_sdwa v6, v6, s19 dst_sel:DWORD dst_unused:UNUSED_PAD src0_sel:WORD_1 src1_sel:DWORD
	s_waitcnt lgkmcnt(0)
	v_pk_fma_f16 v54, v1, v59, v54
	v_pk_fma_f16 v52, v1, v6, v52
	;; [unrolled: 1-line block ×8, first 2 shown]
	ds_read2_b64 v[1:4], v50 offset0:128 offset1:160
	v_mul_u32_u24_sdwa v6, v7, s19 dst_sel:DWORD dst_unused:UNUSED_PAD src0_sel:WORD_0 src1_sel:DWORD
	v_mul_u32_u24_sdwa v7, v7, s19 dst_sel:DWORD dst_unused:UNUSED_PAD src0_sel:WORD_1 src1_sel:DWORD
	s_waitcnt lgkmcnt(0)
	v_pk_fma_f16 v54, v1, v6, v54
	v_pk_fma_f16 v59, v1, v7, v52
	;; [unrolled: 1-line block ×8, first 2 shown]
	ds_read2_b64 v[1:4], v50 offset0:192 offset1:224
	v_mul_u32_u24_sdwa v7, v8, s19 dst_sel:DWORD dst_unused:UNUSED_PAD src0_sel:WORD_0 src1_sel:DWORD
	v_mul_u32_u24_sdwa v8, v8, s19 dst_sel:DWORD dst_unused:UNUSED_PAD src0_sel:WORD_1 src1_sel:DWORD
	s_waitcnt lgkmcnt(0)
	s_barrier
	v_pk_fma_f16 v52, v1, v7, v54
	v_pk_fma_f16 v53, v1, v8, v59
	;; [unrolled: 1-line block ×4, first 2 shown]
	v_add_co_u32_e32 v1, vcc, s27, v14
	v_mov_b32_e32 v2, s28
	v_addc_co_u32_e32 v2, vcc, v2, v15, vcc
	v_add_co_u32_e32 v1, vcc, v1, v43
	v_addc_co_u32_e32 v2, vcc, 0, v2, vcc
	v_pk_fma_f16 v56, v3, v7, v56
	v_pk_fma_f16 v57, v3, v8, v57
	;; [unrolled: 1-line block ×4, first 2 shown]
	global_load_dwordx4 v[1:4], v[1:2], off
	s_waitcnt vmcnt(0)
	ds_write_b128 v36, v[1:4]
	v_add_co_u32_e32 v1, vcc, s27, v16
	v_mov_b32_e32 v2, s28
	v_addc_co_u32_e32 v2, vcc, v2, v17, vcc
	v_add_co_u32_e32 v1, vcc, v1, v43
	v_addc_co_u32_e32 v2, vcc, 0, v2, vcc
	global_load_dwordx4 v[1:4], v[1:2], off
	s_waitcnt vmcnt(0)
	ds_write_b128 v37, v[1:4]
	s_waitcnt lgkmcnt(0)
	s_barrier
	ds_read2_b64 v[60:63], v38 offset1:32
	ds_read_b128 v[64:67], v35 offset:384
	ds_read_b128 v[68:71], v35 offset:400
	;; [unrolled: 1-line block ×4, first 2 shown]
	s_waitcnt lgkmcnt(3)
	v_mul_u32_u24_sdwa v72, v64, s19 dst_sel:DWORD dst_unused:UNUSED_PAD src0_sel:WORD_0 src1_sel:DWORD
	v_mul_u32_u24_sdwa v64, v64, s19 dst_sel:DWORD dst_unused:UNUSED_PAD src0_sel:WORD_1 src1_sel:DWORD
	v_pk_fma_f16 v73, v60, v72, v52
	v_pk_fma_f16 v60, v60, v64, v53
	;; [unrolled: 1-line block ×4, first 2 shown]
	ds_read2_b64 v[52:55], v38 offset0:64 offset1:96
	v_pk_fma_f16 v56, v62, v72, v56
	v_pk_fma_f16 v57, v62, v64, v57
	;; [unrolled: 1-line block ×4, first 2 shown]
	v_mul_u32_u24_sdwa v62, v65, s19 dst_sel:DWORD dst_unused:UNUSED_PAD src0_sel:WORD_0 src1_sel:DWORD
	v_mul_u32_u24_sdwa v63, v65, s19 dst_sel:DWORD dst_unused:UNUSED_PAD src0_sel:WORD_1 src1_sel:DWORD
	s_waitcnt lgkmcnt(0)
	v_pk_fma_f16 v64, v52, v62, v73
	v_pk_fma_f16 v60, v52, v63, v60
	v_pk_fma_f16 v65, v53, v62, v74
	v_pk_fma_f16 v61, v53, v63, v61
	v_pk_fma_f16 v56, v54, v62, v56
	v_pk_fma_f16 v57, v54, v63, v57
	v_pk_fma_f16 v58, v55, v62, v58
	v_pk_fma_f16 v59, v55, v63, v59
	ds_read2_b64 v[52:55], v38 offset0:128 offset1:160
	v_mul_u32_u24_sdwa v62, v66, s19 dst_sel:DWORD dst_unused:UNUSED_PAD src0_sel:WORD_0 src1_sel:DWORD
	v_mul_u32_u24_sdwa v63, v66, s19 dst_sel:DWORD dst_unused:UNUSED_PAD src0_sel:WORD_1 src1_sel:DWORD
	s_waitcnt lgkmcnt(0)
	v_pk_fma_f16 v64, v52, v62, v64
	v_pk_fma_f16 v60, v52, v63, v60
	v_pk_fma_f16 v65, v53, v62, v65
	v_pk_fma_f16 v61, v53, v63, v61
	v_pk_fma_f16 v56, v54, v62, v56
	v_pk_fma_f16 v57, v54, v63, v57
	v_pk_fma_f16 v58, v55, v62, v58
	v_pk_fma_f16 v59, v55, v63, v59
	ds_read2_b64 v[52:55], v38 offset0:192 offset1:224
	v_mul_u32_u24_sdwa v62, v67, s19 dst_sel:DWORD dst_unused:UNUSED_PAD src0_sel:WORD_0 src1_sel:DWORD
	v_mul_u32_u24_sdwa v63, v67, s19 dst_sel:DWORD dst_unused:UNUSED_PAD src0_sel:WORD_1 src1_sel:DWORD
	s_waitcnt lgkmcnt(0)
	v_pk_fma_f16 v64, v52, v62, v64
	v_pk_fma_f16 v60, v52, v63, v60
	v_pk_fma_f16 v65, v53, v62, v65
	v_pk_fma_f16 v61, v53, v63, v61
	v_pk_fma_f16 v56, v54, v62, v56
	v_pk_fma_f16 v57, v54, v63, v57
	v_pk_fma_f16 v58, v55, v62, v58
	v_pk_fma_f16 v59, v55, v63, v59
	ds_read2_b64 v[52:55], v44 offset1:32
	v_mul_u32_u24_sdwa v62, v68, s19 dst_sel:DWORD dst_unused:UNUSED_PAD src0_sel:WORD_0 src1_sel:DWORD
	v_mul_u32_u24_sdwa v63, v68, s19 dst_sel:DWORD dst_unused:UNUSED_PAD src0_sel:WORD_1 src1_sel:DWORD
	s_waitcnt lgkmcnt(0)
	v_pk_fma_f16 v64, v52, v62, v64
	v_pk_fma_f16 v60, v52, v63, v60
	v_pk_fma_f16 v65, v53, v62, v65
	v_pk_fma_f16 v61, v53, v63, v61
	v_pk_fma_f16 v56, v54, v62, v56
	v_pk_fma_f16 v57, v54, v63, v57
	v_pk_fma_f16 v58, v55, v62, v58
	v_pk_fma_f16 v59, v55, v63, v59
	ds_read2_b64 v[52:55], v44 offset0:64 offset1:96
	v_mul_u32_u24_sdwa v62, v69, s19 dst_sel:DWORD dst_unused:UNUSED_PAD src0_sel:WORD_0 src1_sel:DWORD
	v_mul_u32_u24_sdwa v63, v69, s19 dst_sel:DWORD dst_unused:UNUSED_PAD src0_sel:WORD_1 src1_sel:DWORD
	s_waitcnt lgkmcnt(0)
	v_pk_fma_f16 v64, v52, v62, v64
	v_pk_fma_f16 v60, v52, v63, v60
	v_pk_fma_f16 v65, v53, v62, v65
	v_pk_fma_f16 v61, v53, v63, v61
	v_pk_fma_f16 v56, v54, v62, v56
	v_pk_fma_f16 v57, v54, v63, v57
	v_pk_fma_f16 v58, v55, v62, v58
	v_pk_fma_f16 v59, v55, v63, v59
	ds_read2_b64 v[52:55], v44 offset0:128 offset1:160
	v_mul_u32_u24_sdwa v62, v70, s19 dst_sel:DWORD dst_unused:UNUSED_PAD src0_sel:WORD_0 src1_sel:DWORD
	v_mul_u32_u24_sdwa v63, v70, s19 dst_sel:DWORD dst_unused:UNUSED_PAD src0_sel:WORD_1 src1_sel:DWORD
	s_waitcnt lgkmcnt(0)
	v_pk_fma_f16 v64, v52, v62, v64
	v_pk_fma_f16 v60, v52, v63, v60
	v_pk_fma_f16 v65, v53, v62, v65
	v_pk_fma_f16 v61, v53, v63, v61
	v_pk_fma_f16 v56, v54, v62, v56
	v_pk_fma_f16 v57, v54, v63, v57
	v_pk_fma_f16 v58, v55, v62, v58
	v_pk_fma_f16 v59, v55, v63, v59
	ds_read2_b64 v[52:55], v44 offset0:192 offset1:224
	v_mul_u32_u24_sdwa v62, v71, s19 dst_sel:DWORD dst_unused:UNUSED_PAD src0_sel:WORD_0 src1_sel:DWORD
	v_mul_u32_u24_sdwa v63, v71, s19 dst_sel:DWORD dst_unused:UNUSED_PAD src0_sel:WORD_1 src1_sel:DWORD
	s_waitcnt lgkmcnt(0)
	v_pk_fma_f16 v64, v52, v62, v64
	v_pk_fma_f16 v60, v52, v63, v60
	v_pk_fma_f16 v65, v53, v62, v65
	v_pk_fma_f16 v61, v53, v63, v61
	v_pk_fma_f16 v56, v54, v62, v56
	v_pk_fma_f16 v57, v54, v63, v57
	v_pk_fma_f16 v58, v55, v62, v58
	v_pk_fma_f16 v59, v55, v63, v59
	ds_read2_b64 v[52:55], v45 offset1:32
	v_mul_u32_u24_sdwa v62, v5, s19 dst_sel:DWORD dst_unused:UNUSED_PAD src0_sel:WORD_0 src1_sel:DWORD
	v_mul_u32_u24_sdwa v5, v5, s19 dst_sel:DWORD dst_unused:UNUSED_PAD src0_sel:WORD_1 src1_sel:DWORD
	s_waitcnt lgkmcnt(0)
	v_pk_fma_f16 v63, v52, v62, v64
	v_pk_fma_f16 v60, v52, v5, v60
	v_pk_fma_f16 v64, v53, v62, v65
	v_pk_fma_f16 v61, v53, v5, v61
	v_pk_fma_f16 v56, v54, v62, v56
	v_pk_fma_f16 v57, v54, v5, v57
	v_pk_fma_f16 v58, v55, v62, v58
	v_pk_fma_f16 v5, v55, v5, v59
	ds_read2_b64 v[52:55], v45 offset0:64 offset1:96
	;; [unrolled: 48-line block ×3, first 2 shown]
	v_mul_u32_u24_sdwa v55, v2, s19 dst_sel:DWORD dst_unused:UNUSED_PAD src0_sel:WORD_0 src1_sel:DWORD
	v_mul_u32_u24_sdwa v2, v2, s19 dst_sel:DWORD dst_unused:UNUSED_PAD src0_sel:WORD_1 src1_sel:DWORD
	s_waitcnt lgkmcnt(0)
	v_pk_fma_f16 v58, v5, v55, v58
	v_pk_fma_f16 v52, v5, v2, v52
	v_pk_fma_f16 v59, v6, v55, v59
	v_pk_fma_f16 v53, v6, v2, v53
	v_pk_fma_f16 v56, v7, v55, v56
	v_pk_fma_f16 v54, v7, v2, v54
	v_pk_fma_f16 v55, v8, v55, v57
	v_pk_fma_f16 v1, v8, v2, v1
	ds_read2_b64 v[5:8], v46 offset0:128 offset1:160
	v_mul_u32_u24_sdwa v2, v3, s19 dst_sel:DWORD dst_unused:UNUSED_PAD src0_sel:WORD_0 src1_sel:DWORD
	v_mul_u32_u24_sdwa v3, v3, s19 dst_sel:DWORD dst_unused:UNUSED_PAD src0_sel:WORD_1 src1_sel:DWORD
	s_waitcnt lgkmcnt(0)
	v_pk_fma_f16 v57, v5, v2, v58
	v_pk_fma_f16 v52, v5, v3, v52
	v_pk_fma_f16 v58, v6, v2, v59
	v_pk_fma_f16 v53, v6, v3, v53
	v_pk_fma_f16 v56, v7, v2, v56
	v_pk_fma_f16 v54, v7, v3, v54
	v_pk_fma_f16 v2, v8, v2, v55
	v_pk_fma_f16 v1, v8, v3, v1
	ds_read2_b64 v[5:8], v46 offset0:192 offset1:224
	v_mul_u32_u24_sdwa v3, v4, s19 dst_sel:DWORD dst_unused:UNUSED_PAD src0_sel:WORD_0 src1_sel:DWORD
	v_mul_u32_u24_sdwa v4, v4, s19 dst_sel:DWORD dst_unused:UNUSED_PAD src0_sel:WORD_1 src1_sel:DWORD
	s_waitcnt lgkmcnt(0)
	v_pk_fma_f16 v55, v5, v3, v57
	v_pk_fma_f16 v52, v5, v4, v52
	v_pk_fma_f16 v57, v6, v3, v58
	v_pk_fma_f16 v53, v6, v4, v53
	v_pk_fma_f16 v56, v7, v3, v56
	v_pk_fma_f16 v54, v7, v4, v54
	v_pk_fma_f16 v58, v8, v3, v2
	v_pk_fma_f16 v59, v8, v4, v1
	ds_read2_b64 v[1:4], v47 offset1:32
	ds_read_b128 v[5:8], v35 offset:448
	s_waitcnt lgkmcnt(0)
	v_mul_u32_u24_sdwa v60, v5, s19 dst_sel:DWORD dst_unused:UNUSED_PAD src0_sel:WORD_0 src1_sel:DWORD
	v_mul_u32_u24_sdwa v5, v5, s19 dst_sel:DWORD dst_unused:UNUSED_PAD src0_sel:WORD_1 src1_sel:DWORD
	v_pk_fma_f16 v55, v1, v60, v55
	v_pk_fma_f16 v52, v1, v5, v52
	v_pk_fma_f16 v57, v2, v60, v57
	v_pk_fma_f16 v53, v2, v5, v53
	v_pk_fma_f16 v56, v3, v60, v56
	v_pk_fma_f16 v54, v3, v5, v54
	v_pk_fma_f16 v58, v4, v60, v58
	v_pk_fma_f16 v5, v4, v5, v59
	ds_read2_b64 v[1:4], v47 offset0:64 offset1:96
	v_mul_u32_u24_sdwa v59, v6, s19 dst_sel:DWORD dst_unused:UNUSED_PAD src0_sel:WORD_0 src1_sel:DWORD
	v_mul_u32_u24_sdwa v6, v6, s19 dst_sel:DWORD dst_unused:UNUSED_PAD src0_sel:WORD_1 src1_sel:DWORD
	s_waitcnt lgkmcnt(0)
	v_pk_fma_f16 v55, v1, v59, v55
	v_pk_fma_f16 v52, v1, v6, v52
	v_pk_fma_f16 v57, v2, v59, v57
	v_pk_fma_f16 v53, v2, v6, v53
	v_pk_fma_f16 v56, v3, v59, v56
	v_pk_fma_f16 v54, v3, v6, v54
	v_pk_fma_f16 v58, v4, v59, v58
	v_pk_fma_f16 v5, v4, v6, v5
	ds_read2_b64 v[1:4], v47 offset0:128 offset1:160
	v_mul_u32_u24_sdwa v6, v7, s19 dst_sel:DWORD dst_unused:UNUSED_PAD src0_sel:WORD_0 src1_sel:DWORD
	v_mul_u32_u24_sdwa v7, v7, s19 dst_sel:DWORD dst_unused:UNUSED_PAD src0_sel:WORD_1 src1_sel:DWORD
	s_waitcnt lgkmcnt(0)
	v_pk_fma_f16 v55, v1, v6, v55
	v_pk_fma_f16 v52, v1, v7, v52
	v_pk_fma_f16 v57, v2, v6, v57
	v_pk_fma_f16 v53, v2, v7, v53
	v_pk_fma_f16 v56, v3, v6, v56
	v_pk_fma_f16 v54, v3, v7, v54
	v_pk_fma_f16 v6, v4, v6, v58
	v_pk_fma_f16 v5, v4, v7, v5
	ds_read2_b64 v[1:4], v47 offset0:192 offset1:224
	v_mul_u32_u24_sdwa v7, v8, s19 dst_sel:DWORD dst_unused:UNUSED_PAD src0_sel:WORD_0 src1_sel:DWORD
	v_mul_u32_u24_sdwa v8, v8, s19 dst_sel:DWORD dst_unused:UNUSED_PAD src0_sel:WORD_1 src1_sel:DWORD
	s_waitcnt lgkmcnt(0)
	v_pk_fma_f16 v55, v1, v7, v55
	v_pk_fma_f16 v52, v1, v8, v52
	v_pk_fma_f16 v57, v2, v7, v57
	v_pk_fma_f16 v53, v2, v8, v53
	v_pk_fma_f16 v56, v3, v7, v56
	v_pk_fma_f16 v54, v3, v8, v54
	v_pk_fma_f16 v58, v4, v7, v6
	v_pk_fma_f16 v59, v4, v8, v5
	ds_read2_b64 v[1:4], v48 offset1:32
	ds_read_b128 v[5:8], v35 offset:464
	s_waitcnt lgkmcnt(0)
	v_mul_u32_u24_sdwa v60, v5, s19 dst_sel:DWORD dst_unused:UNUSED_PAD src0_sel:WORD_0 src1_sel:DWORD
	v_mul_u32_u24_sdwa v5, v5, s19 dst_sel:DWORD dst_unused:UNUSED_PAD src0_sel:WORD_1 src1_sel:DWORD
	v_pk_fma_f16 v55, v1, v60, v55
	v_pk_fma_f16 v52, v1, v5, v52
	v_pk_fma_f16 v57, v2, v60, v57
	v_pk_fma_f16 v53, v2, v5, v53
	v_pk_fma_f16 v56, v3, v60, v56
	v_pk_fma_f16 v54, v3, v5, v54
	v_pk_fma_f16 v58, v4, v60, v58
	v_pk_fma_f16 v5, v4, v5, v59
	ds_read2_b64 v[1:4], v48 offset0:64 offset1:96
	;; [unrolled: 49-line block ×4, first 2 shown]
	v_mul_u32_u24_sdwa v59, v6, s19 dst_sel:DWORD dst_unused:UNUSED_PAD src0_sel:WORD_0 src1_sel:DWORD
	v_mul_u32_u24_sdwa v6, v6, s19 dst_sel:DWORD dst_unused:UNUSED_PAD src0_sel:WORD_1 src1_sel:DWORD
	s_waitcnt lgkmcnt(0)
	v_pk_fma_f16 v55, v1, v59, v55
	v_pk_fma_f16 v52, v1, v6, v52
	;; [unrolled: 1-line block ×8, first 2 shown]
	ds_read2_b64 v[1:4], v50 offset0:128 offset1:160
	v_mul_u32_u24_sdwa v6, v7, s19 dst_sel:DWORD dst_unused:UNUSED_PAD src0_sel:WORD_0 src1_sel:DWORD
	v_mul_u32_u24_sdwa v7, v7, s19 dst_sel:DWORD dst_unused:UNUSED_PAD src0_sel:WORD_1 src1_sel:DWORD
	s_waitcnt lgkmcnt(0)
	v_pk_fma_f16 v55, v1, v6, v55
	v_pk_fma_f16 v52, v1, v7, v52
	;; [unrolled: 1-line block ×8, first 2 shown]
	ds_read2_b64 v[1:4], v50 offset0:192 offset1:224
	s_waitcnt lgkmcnt(0)
	s_barrier
	s_load_dword s27, s[0:1], 0x4
	v_mul_u32_u24_sdwa v58, v8, s19 dst_sel:DWORD dst_unused:UNUSED_PAD src0_sel:WORD_0 src1_sel:DWORD
	v_mul_u32_u24_sdwa v8, v8, s19 dst_sel:DWORD dst_unused:UNUSED_PAD src0_sel:WORD_1 src1_sel:DWORD
	v_pk_fma_f16 v53, v1, v58, v55
	v_pk_fma_f16 v7, v1, v8, v52
	s_waitcnt lgkmcnt(0)
	s_lshl_b32 s27, s27, 7
	s_add_i32 s6, s27, s6
	v_pk_fma_f16 v57, v2, v58, v57
	v_pk_fma_f16 v54, v2, v8, v59
	;; [unrolled: 1-line block ×6, first 2 shown]
	s_cmp_ge_i32 s6, s24
	s_cbranch_scc0 .LBB0_13
.LBB0_14:
	v_cmp_lt_i32_e32 vcc, v30, v25
	v_cndmask_b32_e32 v1, v24, v30, vcc
	v_lshlrev_b32_e32 v1, 2, v1
	ds_bpermute_b32 v2, v1, v51
	ds_bpermute_b32 v1, v1, v31
	v_cmp_lt_i32_e32 vcc, v29, v25
	v_cndmask_b32_e32 v3, v24, v29, vcc
	v_lshlrev_b32_e32 v3, 2, v3
	s_waitcnt lgkmcnt(1)
	v_add_f32_e32 v2, v51, v2
	s_waitcnt lgkmcnt(0)
	v_add_f32_e32 v1, v31, v1
	ds_bpermute_b32 v4, v3, v2
	ds_bpermute_b32 v3, v3, v1
	v_cmp_lt_i32_e32 vcc, v28, v25
	v_cndmask_b32_e32 v5, v24, v28, vcc
	v_lshlrev_b32_e32 v5, 2, v5
	s_waitcnt lgkmcnt(1)
	v_add_f32_e32 v2, v2, v4
	s_waitcnt lgkmcnt(0)
	v_add_f32_e32 v1, v1, v3
	;; [unrolled: 9-line block ×4, first 2 shown]
	ds_bpermute_b32 v4, v5, v2
	ds_bpermute_b32 v5, v5, v3
	s_cmp_lg_u64 s[16:17], 0
	s_cselect_b64 s[8:9], -1, 0
	s_cmp_eq_u32 s7, 0
	s_cselect_b64 s[10:11], -1, 0
	s_and_b64 s[8:9], s[10:11], s[8:9]
	s_waitcnt lgkmcnt(1)
	v_add_f32_e32 v1, v2, v4
	s_waitcnt lgkmcnt(0)
	v_add_f32_e32 v2, v3, v5
	s_mov_b64 s[0:1], 0
	s_and_b64 vcc, exec, s[8:9]
	v_add_u32_e32 v5, s25, v22
	s_cbranch_vccnz .LBB0_17
; %bb.15:
	v_mov_b32_e32 v4, v2
	v_add_u32_e32 v6, s25, v22
	v_mov_b32_e32 v3, v1
	s_andn2_b64 vcc, exec, s[0:1]
	s_cbranch_vccz .LBB0_18
; %bb.16:
	v_mov_b32_e32 v5, v6
	s_branch .LBB0_19
.LBB0_17:
                                        ; implicit-def: $vgpr6
                                        ; implicit-def: $vgpr3_vgpr4
.LBB0_18:
	v_ashrrev_i32_e32 v6, 31, v5
	v_lshlrev_b64 v[3:4], 2, v[5:6]
	v_mov_b32_e32 v6, s17
	v_add_co_u32_e32 v3, vcc, s16, v3
	v_addc_co_u32_e32 v4, vcc, v6, v4, vcc
	global_load_dwordx2 v[3:4], v[3:4], off
	v_max_f32_e32 v6, v18, v18
	v_max_f32_e32 v10, v19, v19
	s_mov_b32 s0, 0x3fb8aa3b
	s_mov_b32 s1, 0xc2ce8ed0
	;; [unrolled: 1-line block ×3, first 2 shown]
	v_mov_b32_e32 v11, 0x7f800000
	s_waitcnt vmcnt(0)
	v_max_f32_e32 v9, v3, v3
	v_max_f32_e32 v12, v4, v4
	;; [unrolled: 1-line block ×4, first 2 shown]
	v_sub_f32_e32 v6, v18, v9
	v_sub_f32_e32 v12, v19, v10
	v_mov_b32_e32 v19, v10
	v_sub_f32_e32 v3, v3, v9
	v_mov_b32_e32 v18, v9
	v_mul_f32_e32 v9, 0x3fb8aa3b, v6
	v_sub_f32_e32 v4, v4, v10
	v_mul_f32_e32 v10, 0x3fb8aa3b, v3
	v_fma_f32 v15, v6, s0, -v9
	v_rndne_f32_e32 v16, v9
	v_mul_f32_e32 v13, 0x3fb8aa3b, v12
	v_fma_f32 v17, v3, s0, -v10
	v_rndne_f32_e32 v22, v10
	v_fmac_f32_e32 v15, 0x32a5705f, v6
	v_sub_f32_e32 v9, v9, v16
	v_mul_f32_e32 v14, 0x3fb8aa3b, v4
	v_fma_f32 v23, v12, s0, -v13
	v_rndne_f32_e32 v24, v13
	v_fmac_f32_e32 v17, 0x32a5705f, v3
	v_sub_f32_e32 v10, v10, v22
	v_add_f32_e32 v9, v9, v15
	v_fma_f32 v25, v4, s0, -v14
	v_rndne_f32_e32 v26, v14
	v_cvt_i32_f32_e32 v16, v16
	v_fmac_f32_e32 v23, 0x32a5705f, v12
	v_sub_f32_e32 v13, v13, v24
	v_add_f32_e32 v10, v10, v17
	v_exp_f32_e32 v9, v9
	v_cvt_i32_f32_e32 v22, v22
	v_fmac_f32_e32 v25, 0x32a5705f, v4
	v_sub_f32_e32 v14, v14, v26
	v_add_f32_e32 v13, v13, v23
	v_exp_f32_e32 v10, v10
	v_cvt_i32_f32_e32 v24, v24
	v_add_f32_e32 v14, v14, v25
	v_exp_f32_e32 v13, v13
	v_cvt_i32_f32_e32 v26, v26
	v_exp_f32_e32 v14, v14
	v_ldexp_f32 v9, v9, v16
	v_cmp_ngt_f32_e32 vcc, s1, v6
	v_ldexp_f32 v10, v10, v22
	v_cndmask_b32_e32 v9, 0, v9, vcc
	v_cmp_ngt_f32_e32 vcc, s1, v3
	v_ldexp_f32 v13, v13, v24
	v_cndmask_b32_e32 v10, 0, v10, vcc
	;; [unrolled: 3-line block ×3, first 2 shown]
	v_cmp_ngt_f32_e32 vcc, s1, v4
	v_cndmask_b32_e32 v14, 0, v14, vcc
	v_cmp_nlt_f32_e32 vcc, s6, v6
	v_cndmask_b32_e32 v6, v11, v9, vcc
	v_cmp_nlt_f32_e32 vcc, s6, v3
	;; [unrolled: 2-line block ×3, first 2 shown]
	v_cndmask_b32_e32 v9, v11, v13, vcc
	v_fmac_f32_e32 v3, v1, v6
	v_cvt_f16_f32_e32 v6, v6
	v_cvt_f16_f32_e32 v10, v9
	v_cmp_nlt_f32_e32 vcc, s6, v4
	v_cndmask_b32_e32 v4, v11, v14, vcc
	v_fmac_f32_e32 v4, v2, v9
	v_mul_u32_u24_e32 v2, 0x10001, v6
	v_mul_u32_u24_e32 v6, 0x10001, v10
	v_mov_b32_e32 v1, v3
	v_pk_mul_f16 v53, v53, v2
	v_pk_mul_f16 v57, v57, v2
	;; [unrolled: 1-line block ×8, first 2 shown]
	v_mov_b32_e32 v2, v4
.LBB0_19:
	s_load_dword s6, s[4:5], 0xd4
	v_mov_b32_e32 v6, 1.0
	s_waitcnt lgkmcnt(0)
	s_cmp_lg_u32 s6, 1
	s_cselect_b64 s[0:1], -1, 0
	s_cmp_eq_u32 s6, 1
	s_cselect_b64 s[4:5], -1, 0
	s_and_b64 vcc, exec, s[0:1]
	s_cbranch_vccnz .LBB0_21
; %bb.20:
	v_div_scale_f32 v6, s[8:9], v1, v1, 1.0
	v_div_scale_f32 v9, vcc, 1.0, v1, 1.0
	v_rcp_f32_e32 v10, v6
	v_fma_f32 v11, -v6, v10, 1.0
	v_fmac_f32_e32 v10, v11, v10
	v_mul_f32_e32 v11, v9, v10
	v_fma_f32 v12, -v6, v11, v9
	v_fmac_f32_e32 v11, v12, v10
	v_fma_f32 v6, -v6, v11, v9
	v_div_fmas_f32 v6, v6, v10, v11
	v_div_fixup_f32 v6, v6, v1, 1.0
.LBB0_21:
	s_mul_i32 s30, s30, s2
	v_add_u32_e32 v1, s30, v20
	v_mad_u64_u32 v[9:10], s[2:3], v1, s3, v[5:6]
	v_cmp_eq_u32_e32 vcc, 0, v0
	v_cvt_f32_f16_e32 v14, v53
	v_mul_lo_u32 v0, s6, v9
	v_cvt_f32_f16_sdwa v9, v53 dst_sel:DWORD dst_unused:UNUSED_PAD src0_sel:WORD_1
	v_cvt_f32_f16_sdwa v1, v57 dst_sel:DWORD dst_unused:UNUSED_PAD src0_sel:WORD_1
	v_cvt_f32_f16_e32 v5, v57
	v_add_u32_e32 v0, s7, v0
	v_lshl_add_u32 v13, v0, 8, v21
	v_mul_f32_e32 v10, v6, v9
	v_mul_f32_e32 v9, v6, v14
	v_mov_b32_e32 v14, 0
	v_lshlrev_b64 v[15:16], 2, v[13:14]
	s_and_b64 s[0:1], vcc, s[0:1]
	v_mul_f32_e32 v12, v6, v1
	v_mov_b32_e32 v1, s21
	v_add_co_u32_e32 v15, vcc, s20, v15
	v_mul_f32_e32 v11, v6, v5
	v_addc_co_u32_e32 v16, vcc, v1, v16, vcc
	global_store_dwordx4 v[15:16], v[9:12], off
	v_cvt_f32_f16_sdwa v1, v56 dst_sel:DWORD dst_unused:UNUSED_PAD src0_sel:WORD_1
	v_cvt_f32_f16_e32 v5, v56
	v_cvt_f32_f16_sdwa v9, v55 dst_sel:DWORD dst_unused:UNUSED_PAD src0_sel:WORD_1
	v_cvt_f32_f16_e32 v15, v55
	v_add_u32_e32 v13, 0x80, v13
	v_mul_f32_e32 v12, v6, v1
	v_mul_f32_e32 v11, v6, v5
	;; [unrolled: 1-line block ×4, first 2 shown]
	v_lshlrev_b64 v[5:6], 2, v[13:14]
	v_mov_b32_e32 v1, s21
	v_add_co_u32_e32 v5, vcc, s20, v5
	v_addc_co_u32_e32 v6, vcc, v1, v6, vcc
	global_store_dwordx4 v[5:6], v[9:12], off
	s_and_saveexec_b64 s[2:3], s[0:1]
	s_cbranch_execz .LBB0_23
; %bb.22:
	v_ashrrev_i32_e32 v1, 31, v0
	v_lshlrev_b64 v[5:6], 3, v[0:1]
	v_mov_b32_e32 v1, s23
	v_add_co_u32_e32 v5, vcc, s22, v5
	v_addc_co_u32_e32 v6, vcc, v1, v6, vcc
	v_mov_b32_e32 v9, v18
	v_mov_b32_e32 v10, v3
	global_store_dwordx2 v[5:6], v[9:10], off
.LBB0_23:
	s_or_b64 exec, exec, s[2:3]
	s_andn2_b64 vcc, exec, s[4:5]
	v_mov_b32_e32 v1, 1.0
	s_cbranch_vccnz .LBB0_25
; %bb.24:
	v_div_scale_f32 v1, s[2:3], v2, v2, 1.0
	v_div_scale_f32 v3, vcc, 1.0, v2, 1.0
	v_rcp_f32_e32 v5, v1
	v_fma_f32 v6, -v1, v5, 1.0
	v_fmac_f32_e32 v5, v6, v5
	v_mul_f32_e32 v6, v3, v5
	v_fma_f32 v9, -v1, v6, v3
	v_fmac_f32_e32 v6, v9, v5
	v_fma_f32 v1, -v1, v6, v3
	v_div_fmas_f32 v1, v1, v5, v6
	v_div_fixup_f32 v1, v1, v2, 1.0
.LBB0_25:
	v_cvt_f32_f16_sdwa v3, v54 dst_sel:DWORD dst_unused:UNUSED_PAD src0_sel:WORD_1
	v_cvt_f32_f16_e32 v5, v54
	v_cvt_f32_f16_sdwa v6, v7 dst_sel:DWORD dst_unused:UNUSED_PAD src0_sel:WORD_1
	v_add_u32_e32 v0, s6, v0
	v_cvt_f32_f16_e32 v7, v7
	v_lshl_add_u32 v2, v0, 8, v21
	v_mul_f32_e32 v12, v1, v3
	v_mov_b32_e32 v3, 0
	v_mul_f32_e32 v11, v1, v5
	v_mul_f32_e32 v10, v1, v6
	v_lshlrev_b64 v[5:6], 2, v[2:3]
	v_mul_f32_e32 v9, v1, v7
	v_mov_b32_e32 v7, s21
	v_add_co_u32_e32 v5, vcc, s20, v5
	v_addc_co_u32_e32 v6, vcc, v7, v6, vcc
	global_store_dwordx4 v[5:6], v[9:12], off
	v_cvt_f32_f16_sdwa v5, v8 dst_sel:DWORD dst_unused:UNUSED_PAD src0_sel:WORD_1
	v_cvt_f32_f16_e32 v6, v8
	v_cvt_f32_f16_sdwa v9, v52 dst_sel:DWORD dst_unused:UNUSED_PAD src0_sel:WORD_1
	v_cvt_f32_f16_e32 v10, v52
	v_add_u32_e32 v2, 0x80, v2
	v_mul_f32_e32 v8, v1, v5
	v_mul_f32_e32 v7, v1, v6
	;; [unrolled: 1-line block ×4, first 2 shown]
	v_lshlrev_b64 v[1:2], 2, v[2:3]
	v_mov_b32_e32 v3, s21
	v_add_co_u32_e32 v1, vcc, s20, v1
	v_addc_co_u32_e32 v2, vcc, v3, v2, vcc
	global_store_dwordx4 v[1:2], v[5:8], off
	s_and_saveexec_b64 s[2:3], s[0:1]
	s_cbranch_execz .LBB0_27
; %bb.26:
	v_ashrrev_i32_e32 v1, 31, v0
	v_lshlrev_b64 v[0:1], 3, v[0:1]
	v_mov_b32_e32 v2, s23
	v_add_co_u32_e32 v0, vcc, s22, v0
	v_addc_co_u32_e32 v1, vcc, v2, v1, vcc
	v_mov_b32_e32 v3, v19
	global_store_dwordx2 v[0:1], v[3:4], off
.LBB0_27:
	s_endpgm
	.section	.rodata,"a",@progbits
	.p2align	6, 0x0
	.amdhsa_kernel _ZL15flash_attn_tileILi320ELi256ELi1ELi32ELb0EEvPKcS1_S1_S1_S1_PKiPfP15HIP_vector_typeIfLj2EEffffjfiS5_IjLj3EEiiiiiiiiiiiliiliiiiil
		.amdhsa_group_segment_fixed_size 47104
		.amdhsa_private_segment_fixed_size 0
		.amdhsa_kernarg_size 464
		.amdhsa_user_sgpr_count 6
		.amdhsa_user_sgpr_private_segment_buffer 1
		.amdhsa_user_sgpr_dispatch_ptr 0
		.amdhsa_user_sgpr_queue_ptr 0
		.amdhsa_user_sgpr_kernarg_segment_ptr 1
		.amdhsa_user_sgpr_dispatch_id 0
		.amdhsa_user_sgpr_flat_scratch_init 0
		.amdhsa_user_sgpr_private_segment_size 0
		.amdhsa_uses_dynamic_stack 0
		.amdhsa_system_sgpr_private_segment_wavefront_offset 0
		.amdhsa_system_sgpr_workgroup_id_x 1
		.amdhsa_system_sgpr_workgroup_id_y 1
		.amdhsa_system_sgpr_workgroup_id_z 1
		.amdhsa_system_sgpr_workgroup_info 0
		.amdhsa_system_vgpr_workitem_id 1
		.amdhsa_next_free_vgpr 88
		.amdhsa_next_free_sgpr 98
		.amdhsa_reserve_vcc 1
		.amdhsa_reserve_flat_scratch 0
		.amdhsa_float_round_mode_32 0
		.amdhsa_float_round_mode_16_64 0
		.amdhsa_float_denorm_mode_32 3
		.amdhsa_float_denorm_mode_16_64 3
		.amdhsa_dx10_clamp 1
		.amdhsa_ieee_mode 1
		.amdhsa_fp16_overflow 0
		.amdhsa_exception_fp_ieee_invalid_op 0
		.amdhsa_exception_fp_denorm_src 0
		.amdhsa_exception_fp_ieee_div_zero 0
		.amdhsa_exception_fp_ieee_overflow 0
		.amdhsa_exception_fp_ieee_underflow 0
		.amdhsa_exception_fp_ieee_inexact 0
		.amdhsa_exception_int_div_zero 0
	.end_amdhsa_kernel
	.section	.text._ZL15flash_attn_tileILi320ELi256ELi1ELi32ELb0EEvPKcS1_S1_S1_S1_PKiPfP15HIP_vector_typeIfLj2EEffffjfiS5_IjLj3EEiiiiiiiiiiiliiliiiiil,"axG",@progbits,_ZL15flash_attn_tileILi320ELi256ELi1ELi32ELb0EEvPKcS1_S1_S1_S1_PKiPfP15HIP_vector_typeIfLj2EEffffjfiS5_IjLj3EEiiiiiiiiiiiliiliiiiil,comdat
.Lfunc_end0:
	.size	_ZL15flash_attn_tileILi320ELi256ELi1ELi32ELb0EEvPKcS1_S1_S1_S1_PKiPfP15HIP_vector_typeIfLj2EEffffjfiS5_IjLj3EEiiiiiiiiiiiliiliiiiil, .Lfunc_end0-_ZL15flash_attn_tileILi320ELi256ELi1ELi32ELb0EEvPKcS1_S1_S1_S1_PKiPfP15HIP_vector_typeIfLj2EEffffjfiS5_IjLj3EEiiiiiiiiiiiliiliiiiil
                                        ; -- End function
	.set _ZL15flash_attn_tileILi320ELi256ELi1ELi32ELb0EEvPKcS1_S1_S1_S1_PKiPfP15HIP_vector_typeIfLj2EEffffjfiS5_IjLj3EEiiiiiiiiiiiliiliiiiil.num_vgpr, 88
	.set _ZL15flash_attn_tileILi320ELi256ELi1ELi32ELb0EEvPKcS1_S1_S1_S1_PKiPfP15HIP_vector_typeIfLj2EEffffjfiS5_IjLj3EEiiiiiiiiiiiliiliiiiil.num_agpr, 0
	.set _ZL15flash_attn_tileILi320ELi256ELi1ELi32ELb0EEvPKcS1_S1_S1_S1_PKiPfP15HIP_vector_typeIfLj2EEffffjfiS5_IjLj3EEiiiiiiiiiiiliiliiiiil.numbered_sgpr, 40
	.set _ZL15flash_attn_tileILi320ELi256ELi1ELi32ELb0EEvPKcS1_S1_S1_S1_PKiPfP15HIP_vector_typeIfLj2EEffffjfiS5_IjLj3EEiiiiiiiiiiiliiliiiiil.num_named_barrier, 0
	.set _ZL15flash_attn_tileILi320ELi256ELi1ELi32ELb0EEvPKcS1_S1_S1_S1_PKiPfP15HIP_vector_typeIfLj2EEffffjfiS5_IjLj3EEiiiiiiiiiiiliiliiiiil.private_seg_size, 0
	.set _ZL15flash_attn_tileILi320ELi256ELi1ELi32ELb0EEvPKcS1_S1_S1_S1_PKiPfP15HIP_vector_typeIfLj2EEffffjfiS5_IjLj3EEiiiiiiiiiiiliiliiiiil.uses_vcc, 1
	.set _ZL15flash_attn_tileILi320ELi256ELi1ELi32ELb0EEvPKcS1_S1_S1_S1_PKiPfP15HIP_vector_typeIfLj2EEffffjfiS5_IjLj3EEiiiiiiiiiiiliiliiiiil.uses_flat_scratch, 0
	.set _ZL15flash_attn_tileILi320ELi256ELi1ELi32ELb0EEvPKcS1_S1_S1_S1_PKiPfP15HIP_vector_typeIfLj2EEffffjfiS5_IjLj3EEiiiiiiiiiiiliiliiiiil.has_dyn_sized_stack, 0
	.set _ZL15flash_attn_tileILi320ELi256ELi1ELi32ELb0EEvPKcS1_S1_S1_S1_PKiPfP15HIP_vector_typeIfLj2EEffffjfiS5_IjLj3EEiiiiiiiiiiiliiliiiiil.has_recursion, 0
	.set _ZL15flash_attn_tileILi320ELi256ELi1ELi32ELb0EEvPKcS1_S1_S1_S1_PKiPfP15HIP_vector_typeIfLj2EEffffjfiS5_IjLj3EEiiiiiiiiiiiliiliiiiil.has_indirect_call, 0
	.section	.AMDGPU.csdata,"",@progbits
; Kernel info:
; codeLenInByte = 30384
; TotalNumSgprs: 44
; NumVgprs: 88
; ScratchSize: 0
; MemoryBound: 0
; FloatMode: 240
; IeeeMode: 1
; LDSByteSize: 47104 bytes/workgroup (compile time only)
; SGPRBlocks: 12
; VGPRBlocks: 21
; NumSGPRsForWavesPerEU: 102
; NumVGPRsForWavesPerEU: 88
; Occupancy: 2
; WaveLimiterHint : 1
; COMPUTE_PGM_RSRC2:SCRATCH_EN: 0
; COMPUTE_PGM_RSRC2:USER_SGPR: 6
; COMPUTE_PGM_RSRC2:TRAP_HANDLER: 0
; COMPUTE_PGM_RSRC2:TGID_X_EN: 1
; COMPUTE_PGM_RSRC2:TGID_Y_EN: 1
; COMPUTE_PGM_RSRC2:TGID_Z_EN: 1
; COMPUTE_PGM_RSRC2:TIDIG_COMP_CNT: 1
	.section	.text._ZL25flash_attn_mask_to_KV_maxILi1EEvPK7__half2Piiii,"axG",@progbits,_ZL25flash_attn_mask_to_KV_maxILi1EEvPK7__half2Piiii,comdat
	.globl	_ZL25flash_attn_mask_to_KV_maxILi1EEvPK7__half2Piiii ; -- Begin function _ZL25flash_attn_mask_to_KV_maxILi1EEvPK7__half2Piiii
	.p2align	8
	.type	_ZL25flash_attn_mask_to_KV_maxILi1EEvPK7__half2Piiii,@function
_ZL25flash_attn_mask_to_KV_maxILi1EEvPK7__half2Piiii: ; @_ZL25flash_attn_mask_to_KV_maxILi1EEvPK7__half2Piiii
; %bb.0:
	s_load_dwordx4 s[8:11], s[4:5], 0x0
	v_cmp_gt_u32_e32 vcc, 32, v0
	s_and_saveexec_b64 s[0:1], vcc
; %bb.1:
	v_lshlrev_b32_e32 v1, 2, v0
	v_mov_b32_e32 v2, 1
	ds_write_b32 v1, v2
; %bb.2:
	s_or_b64 exec, exec, s[0:1]
	s_load_dwordx4 s[0:3], s[4:5], 0x10
	s_load_dword s12, s[4:5], 0x20
	v_and_b32_e32 v1, 31, v0
	v_lshlrev_b32_e32 v4, 2, v1
	v_lshrrev_b32_e32 v3, 3, v0
	s_waitcnt lgkmcnt(0)
	s_mul_i32 s2, s2, s7
	s_mul_i32 s1, s1, s6
	s_add_i32 s2, s2, s1
	s_ashr_i32 s3, s2, 31
	s_lshl_b64 s[2:3], s[2:3], 2
	s_add_u32 s13, s8, s2
	s_addc_u32 s14, s9, s3
	s_lshl_b32 s15, s0, 8
	v_cmp_eq_u32_e64 s[0:1], 0, v1
	v_mbcnt_lo_u32_b32 v1, -1, 0
	v_mbcnt_hi_u32_b32 v5, -1, v1
	v_and_b32_e32 v1, 0x60, v5
	s_mov_b64 s[4:5], 0
	v_mov_b32_e32 v2, 0
	s_movk_i32 s16, 0x204
	v_add_u32_e32 v6, 32, v1
	v_xor_b32_e32 v7, 16, v5
	v_xor_b32_e32 v8, 8, v5
	;; [unrolled: 1-line block ×5, first 2 shown]
	s_barrier
                                        ; implicit-def: $sgpr2_sgpr3
	s_branch .LBB1_5
.LBB1_3:                                ;   in Loop: Header=BB1_5 Depth=1
	s_or_b64 exec, exec, s[8:9]
	s_waitcnt lgkmcnt(0)
	s_barrier
	ds_read_b32 v16, v4
	s_waitcnt lgkmcnt(0)
	s_barrier
	ds_bpermute_b32 v1, v1, v16
	v_cmp_ne_u32_e32 vcc, 0, v16
	s_waitcnt lgkmcnt(0)
	v_cmp_ne_u32_e64 s[2:3], 0, v1
	s_and_b64 s[2:3], vcc, s[2:3]
	v_cndmask_b32_e64 v1, 0, 1, s[2:3]
	ds_bpermute_b32 v1, v12, v1
	s_waitcnt lgkmcnt(0)
	v_cmp_ne_u32_e32 vcc, 0, v1
	s_and_b64 s[2:3], vcc, s[2:3]
	v_cndmask_b32_e64 v1, 0, 1, s[2:3]
	ds_bpermute_b32 v1, v13, v1
	s_waitcnt lgkmcnt(0)
	v_cmp_ne_u32_e32 vcc, 0, v1
	;; [unrolled: 5-line block ×3, first 2 shown]
	s_and_b64 s[2:3], vcc, s[2:3]
	v_cndmask_b32_e64 v1, 0, 1, s[2:3]
	ds_bpermute_b32 v1, v15, v1
	s_xor_b64 s[2:3], s[2:3], -1
	s_waitcnt lgkmcnt(0)
	v_cmp_eq_u32_e32 vcc, 0, v1
	s_or_b64 s[2:3], vcc, s[2:3]
.LBB1_4:                                ;   in Loop: Header=BB1_5 Depth=1
	s_and_b64 s[8:9], exec, s[2:3]
	s_or_b64 s[4:5], s[8:9], s[4:5]
	v_mov_b32_e32 v1, s15
	s_mov_b32 s15, s17
	s_andn2_b64 exec, exec, s[4:5]
	s_cbranch_execz .LBB1_10
.LBB1_5:                                ; =>This Inner Loop Header: Depth=1
	s_add_i32 s17, s15, 0xffffff00
	s_or_b64 s[2:3], s[2:3], exec
	s_cmp_lt_i32 s17, 0
	s_cbranch_scc1 .LBB1_4
; %bb.6:                                ;   in Loop: Header=BB1_5 Depth=1
	s_lshr_b32 s2, s17, 1
	v_add_u32_e32 v1, s2, v0
	v_lshlrev_b64 v[12:13], 2, v[1:2]
	v_mov_b32_e32 v1, s14
	v_add_co_u32_e32 v12, vcc, s13, v12
	v_addc_co_u32_e32 v13, vcc, v1, v13, vcc
	global_load_dword v1, v[12:13], off
	v_mov_b32_e32 v12, 0
	s_waitcnt vmcnt(0)
	v_cmp_class_f16_e64 s[8:9], v1, s16
	s_and_saveexec_b64 s[2:3], s[8:9]
; %bb.7:                                ;   in Loop: Header=BB1_5 Depth=1
	v_cmp_class_f16_sdwa s[8:9], v1, s16 src0_sel:WORD_1 src1_sel:DWORD
	v_cndmask_b32_e64 v12, 0, 1, s[8:9]
; %bb.8:                                ;   in Loop: Header=BB1_5 Depth=1
	s_or_b64 exec, exec, s[2:3]
	v_cmp_lt_i32_e32 vcc, v7, v6
	v_cndmask_b32_e32 v1, v5, v7, vcc
	v_lshlrev_b32_e32 v1, 2, v1
	ds_bpermute_b32 v13, v1, v12
	v_cmp_ne_u32_e32 vcc, 0, v12
	s_waitcnt lgkmcnt(0)
	v_cmp_ne_u32_e64 s[2:3], 0, v13
	s_and_b64 s[2:3], vcc, s[2:3]
	v_cmp_lt_i32_e32 vcc, v8, v6
	v_cndmask_b32_e32 v12, v5, v8, vcc
	v_cndmask_b32_e64 v13, 0, 1, s[2:3]
	v_lshlrev_b32_e32 v12, 2, v12
	ds_bpermute_b32 v13, v12, v13
	s_waitcnt lgkmcnt(0)
	v_cmp_ne_u32_e32 vcc, 0, v13
	s_and_b64 s[2:3], vcc, s[2:3]
	v_cmp_lt_i32_e32 vcc, v9, v6
	v_cndmask_b32_e32 v13, v5, v9, vcc
	v_cndmask_b32_e64 v14, 0, 1, s[2:3]
	v_lshlrev_b32_e32 v13, 2, v13
	ds_bpermute_b32 v14, v13, v14
	s_waitcnt lgkmcnt(0)
	v_cmp_ne_u32_e32 vcc, 0, v14
	;; [unrolled: 8-line block ×3, first 2 shown]
	s_and_b64 s[2:3], vcc, s[2:3]
	v_cmp_lt_i32_e32 vcc, v11, v6
	v_cndmask_b32_e32 v15, v5, v11, vcc
	v_cndmask_b32_e64 v16, 0, 1, s[2:3]
	v_lshlrev_b32_e32 v15, 2, v15
	ds_bpermute_b32 v16, v15, v16
	s_and_saveexec_b64 s[8:9], s[0:1]
	s_cbranch_execz .LBB1_3
; %bb.9:                                ;   in Loop: Header=BB1_5 Depth=1
	s_waitcnt lgkmcnt(0)
	v_cmp_ne_u32_e32 vcc, 0, v16
	s_and_b64 s[2:3], vcc, s[2:3]
	v_cndmask_b32_e64 v16, 0, 1, s[2:3]
	ds_write_b32 v3, v16
	s_branch .LBB1_3
.LBB1_10:
	s_or_b64 exec, exec, s[4:5]
	v_cmp_eq_u32_e32 vcc, 0, v0
	s_and_saveexec_b64 s[0:1], vcc
	s_cbranch_execz .LBB1_12
; %bb.11:
	s_mul_i32 s0, s12, s7
	s_add_i32 s0, s0, s6
	s_ashr_i32 s1, s0, 31
	s_lshl_b64 s[0:1], s[0:1], 2
	s_add_u32 s0, s10, s0
	s_addc_u32 s1, s11, s1
	v_mov_b32_e32 v0, 0
	global_store_dword v0, v1, s[0:1]
.LBB1_12:
	s_endpgm
	.section	.rodata,"a",@progbits
	.p2align	6, 0x0
	.amdhsa_kernel _ZL25flash_attn_mask_to_KV_maxILi1EEvPK7__half2Piiii
		.amdhsa_group_segment_fixed_size 128
		.amdhsa_private_segment_fixed_size 0
		.amdhsa_kernarg_size 288
		.amdhsa_user_sgpr_count 6
		.amdhsa_user_sgpr_private_segment_buffer 1
		.amdhsa_user_sgpr_dispatch_ptr 0
		.amdhsa_user_sgpr_queue_ptr 0
		.amdhsa_user_sgpr_kernarg_segment_ptr 1
		.amdhsa_user_sgpr_dispatch_id 0
		.amdhsa_user_sgpr_flat_scratch_init 0
		.amdhsa_user_sgpr_private_segment_size 0
		.amdhsa_uses_dynamic_stack 0
		.amdhsa_system_sgpr_private_segment_wavefront_offset 0
		.amdhsa_system_sgpr_workgroup_id_x 1
		.amdhsa_system_sgpr_workgroup_id_y 1
		.amdhsa_system_sgpr_workgroup_id_z 0
		.amdhsa_system_sgpr_workgroup_info 0
		.amdhsa_system_vgpr_workitem_id 0
		.amdhsa_next_free_vgpr 17
		.amdhsa_next_free_sgpr 18
		.amdhsa_reserve_vcc 1
		.amdhsa_reserve_flat_scratch 0
		.amdhsa_float_round_mode_32 0
		.amdhsa_float_round_mode_16_64 0
		.amdhsa_float_denorm_mode_32 3
		.amdhsa_float_denorm_mode_16_64 3
		.amdhsa_dx10_clamp 1
		.amdhsa_ieee_mode 1
		.amdhsa_fp16_overflow 0
		.amdhsa_exception_fp_ieee_invalid_op 0
		.amdhsa_exception_fp_denorm_src 0
		.amdhsa_exception_fp_ieee_div_zero 0
		.amdhsa_exception_fp_ieee_overflow 0
		.amdhsa_exception_fp_ieee_underflow 0
		.amdhsa_exception_fp_ieee_inexact 0
		.amdhsa_exception_int_div_zero 0
	.end_amdhsa_kernel
	.section	.text._ZL25flash_attn_mask_to_KV_maxILi1EEvPK7__half2Piiii,"axG",@progbits,_ZL25flash_attn_mask_to_KV_maxILi1EEvPK7__half2Piiii,comdat
.Lfunc_end1:
	.size	_ZL25flash_attn_mask_to_KV_maxILi1EEvPK7__half2Piiii, .Lfunc_end1-_ZL25flash_attn_mask_to_KV_maxILi1EEvPK7__half2Piiii
                                        ; -- End function
	.set _ZL25flash_attn_mask_to_KV_maxILi1EEvPK7__half2Piiii.num_vgpr, 17
	.set _ZL25flash_attn_mask_to_KV_maxILi1EEvPK7__half2Piiii.num_agpr, 0
	.set _ZL25flash_attn_mask_to_KV_maxILi1EEvPK7__half2Piiii.numbered_sgpr, 18
	.set _ZL25flash_attn_mask_to_KV_maxILi1EEvPK7__half2Piiii.num_named_barrier, 0
	.set _ZL25flash_attn_mask_to_KV_maxILi1EEvPK7__half2Piiii.private_seg_size, 0
	.set _ZL25flash_attn_mask_to_KV_maxILi1EEvPK7__half2Piiii.uses_vcc, 1
	.set _ZL25flash_attn_mask_to_KV_maxILi1EEvPK7__half2Piiii.uses_flat_scratch, 0
	.set _ZL25flash_attn_mask_to_KV_maxILi1EEvPK7__half2Piiii.has_dyn_sized_stack, 0
	.set _ZL25flash_attn_mask_to_KV_maxILi1EEvPK7__half2Piiii.has_recursion, 0
	.set _ZL25flash_attn_mask_to_KV_maxILi1EEvPK7__half2Piiii.has_indirect_call, 0
	.section	.AMDGPU.csdata,"",@progbits
; Kernel info:
; codeLenInByte = 752
; TotalNumSgprs: 22
; NumVgprs: 17
; ScratchSize: 0
; MemoryBound: 0
; FloatMode: 240
; IeeeMode: 1
; LDSByteSize: 128 bytes/workgroup (compile time only)
; SGPRBlocks: 2
; VGPRBlocks: 4
; NumSGPRsForWavesPerEU: 22
; NumVGPRsForWavesPerEU: 17
; Occupancy: 10
; WaveLimiterHint : 0
; COMPUTE_PGM_RSRC2:SCRATCH_EN: 0
; COMPUTE_PGM_RSRC2:USER_SGPR: 6
; COMPUTE_PGM_RSRC2:TRAP_HANDLER: 0
; COMPUTE_PGM_RSRC2:TGID_X_EN: 1
; COMPUTE_PGM_RSRC2:TGID_Y_EN: 1
; COMPUTE_PGM_RSRC2:TGID_Z_EN: 0
; COMPUTE_PGM_RSRC2:TIDIG_COMP_CNT: 0
	.section	.text._ZL33flash_attn_stream_k_fixup_uniformILi256ELi1ELi32EEvPfPK15HIP_vector_typeIfLj2EEiiiiiiS1_IjLj3EES5_S5_,"axG",@progbits,_ZL33flash_attn_stream_k_fixup_uniformILi256ELi1ELi32EEvPfPK15HIP_vector_typeIfLj2EEiiiiiiS1_IjLj3EES5_S5_,comdat
	.globl	_ZL33flash_attn_stream_k_fixup_uniformILi256ELi1ELi32EEvPfPK15HIP_vector_typeIfLj2EEiiiiiiS1_IjLj3EES5_S5_ ; -- Begin function _ZL33flash_attn_stream_k_fixup_uniformILi256ELi1ELi32EEvPfPK15HIP_vector_typeIfLj2EEiiiiiiS1_IjLj3EES5_S5_
	.p2align	8
	.type	_ZL33flash_attn_stream_k_fixup_uniformILi256ELi1ELi32EEvPfPK15HIP_vector_typeIfLj2EEiiiiiiS1_IjLj3EES5_S5_,@function
_ZL33flash_attn_stream_k_fixup_uniformILi256ELi1ELi32EEvPfPK15HIP_vector_typeIfLj2EEiiiiiiS1_IjLj3EES5_S5_: ; @_ZL33flash_attn_stream_k_fixup_uniformILi256ELi1ELi32EEvPfPK15HIP_vector_typeIfLj2EEiiiiiiS1_IjLj3EES5_S5_
; %bb.0:
	s_load_dwordx8 s[12:19], s[4:5], 0x1c
	s_load_dwordx2 s[10:11], s[4:5], 0x10
	s_load_dwordx4 s[0:3], s[4:5], 0x3c
	s_waitcnt lgkmcnt(0)
	s_mul_hi_u32 s9, s15, s6
	s_add_i32 s9, s6, s9
	s_lshr_b32 s9, s9, s16
	s_mul_i32 s15, s9, s17
	s_sub_i32 s16, s6, s15
	s_mul_hi_u32 s15, s16, s18
	s_add_i32 s15, s16, s15
	s_lshr_b32 s15, s15, s19
	s_mul_i32 s0, s15, s0
	s_sub_i32 s0, s16, s0
	s_mul_hi_u32 s1, s0, s1
	s_add_i32 s1, s0, s1
	s_lshr_b32 s1, s1, s2
	s_mul_i32 s2, s1, s3
	s_sub_i32 s16, s0, s2
	s_lshl_b32 s17, s1, 5
	s_add_i32 s16, s16, s7
	s_cmp_lt_i32 s16, s10
	s_cselect_b64 s[0:1], -1, 0
	s_add_i32 s17, s17, s8
	s_cmp_lt_i32 s17, s13
	s_cselect_b64 s[2:3], -1, 0
	s_and_b64 s[0:1], s[0:1], s[2:3]
	s_andn2_b64 vcc, exec, s[0:1]
	s_cbranch_vccnz .LBB2_6
; %bb.1:
	s_mul_i32 s9, s9, s10
	s_load_dwordx4 s[0:3], s[4:5], 0x0
	s_mul_i32 s15, s15, s13
	s_add_i32 s4, s16, s9
	s_mul_i32 s4, s4, s11
	s_add_i32 s5, s17, s15
	s_add_i32 s5, s5, s4
	v_lshl_or_b32 v1, s5, 8, v0
	v_ashrrev_i32_e32 v2, 31, v1
	v_lshlrev_b64 v[1:2], 2, v[1:2]
	s_waitcnt lgkmcnt(0)
	v_mov_b32_e32 v3, s1
	v_add_co_u32_e32 v1, vcc, s0, v1
	v_addc_co_u32_e32 v2, vcc, v3, v2, vcc
	global_load_dword v8, v[1:2], off
	s_mul_i32 s9, s14, s6
	s_add_i32 s4, s9, s14
	s_add_i32 s0, s7, s4
	s_lshl_b32 s0, s0, 5
	s_add_i32 s0, s0, s8
	s_sub_i32 s0, s0, 32
	s_ashr_i32 s1, s0, 31
	s_lshl_b64 s[0:1], s[0:1], 3
	s_add_u32 s0, s2, s0
	s_addc_u32 s1, s3, s1
	s_load_dword s5, s[0:1], 0x4
	s_add_i32 s10, s4, -2
	s_cmp_lt_i32 s10, s9
	s_cbranch_scc1 .LBB2_4
; %bb.2:
	s_lshl_b32 s10, s12, 7
	s_ashr_i32 s11, s10, 31
	s_lshl_b64 s[10:11], s[10:11], 2
	s_add_u32 s10, s2, s10
	s_addc_u32 s13, s3, s11
	s_load_dword s0, s[0:1], 0x0
	s_add_i32 s6, s6, 1
	s_lshl_b32 s1, s8, 8
	s_add_i32 s12, s7, s12
	s_mul_i32 s6, s14, s6
	s_lshl_b32 s7, s7, 13
	s_add_i32 s12, s12, s4
	s_lshl_b32 s6, s6, 13
	s_add_i32 s1, s1, s7
	s_add_i32 s11, s4, -1
	s_lshl_b32 s4, s12, 5
	s_add_i32 s1, s1, s6
	s_add_i32 s8, s8, s4
	v_or_b32_e32 v0, s1, v0
	s_sub_i32 s4, s8, 64
	v_add_u32_e32 v3, 0xffffc000, v0
	s_waitcnt lgkmcnt(0)
	v_mov_b32_e32 v7, s5
	v_mov_b32_e32 v6, s0
	;; [unrolled: 1-line block ×3, first 2 shown]
	s_mov_b32 s6, 0x3fb8aa3b
	s_mov_b32 s7, 0xc2ce8ed0
	;; [unrolled: 1-line block ×3, first 2 shown]
	v_mov_b32_e32 v5, 0x7f800000
	s_mov_b32 s12, 0xc1a00000
.LBB2_3:                                ; =>This Inner Loop Header: Depth=1
	v_ashrrev_i32_e32 v4, 31, v3
	v_lshlrev_b64 v[9:10], 2, v[3:4]
	s_ashr_i32 s5, s4, 31
	v_add_co_u32_e32 v9, vcc, s10, v9
	v_addc_co_u32_e32 v10, vcc, v0, v10, vcc
	global_load_dword v4, v[9:10], off
	s_lshl_b64 s[0:1], s[4:5], 3
	s_add_u32 s0, s2, s0
	s_addc_u32 s1, s3, s1
	s_load_dwordx2 s[14:15], s[0:1], 0x0
	s_waitcnt vmcnt(1)
	v_mov_b32_e32 v9, v8
	v_max_f32_e32 v8, v6, v6
	v_mov_b32_e32 v10, v7
	s_add_i32 s11, s11, -1
	s_waitcnt lgkmcnt(0)
	v_max_f32_e64 v7, s14, s14
	v_max_f32_e32 v7, v8, v7
	v_sub_f32_e32 v11, s14, v7
	v_sub_f32_e32 v8, v6, v7
	v_mul_f32_e32 v12, 0x3fb8aa3b, v11
	v_mov_b32_e32 v6, v7
	v_mul_f32_e32 v7, 0x3fb8aa3b, v8
	v_fma_f32 v15, v11, s6, -v12
	v_rndne_f32_e32 v16, v12
	v_fma_f32 v13, v8, s6, -v7
	v_rndne_f32_e32 v14, v7
	v_fmac_f32_e32 v15, 0x32a5705f, v11
	v_sub_f32_e32 v12, v12, v16
	v_fmac_f32_e32 v13, 0x32a5705f, v8
	v_sub_f32_e32 v7, v7, v14
	v_add_f32_e32 v12, v12, v15
	v_cvt_i32_f32_e32 v16, v16
	v_add_f32_e32 v7, v7, v13
	v_exp_f32_e32 v12, v12
	v_cvt_i32_f32_e32 v14, v14
	v_exp_f32_e32 v7, v7
	v_cmp_ngt_f32_e32 vcc, s7, v11
	v_ldexp_f32 v12, v12, v16
	v_cmp_ngt_f32_e64 s[0:1], s7, v8
	v_ldexp_f32 v7, v7, v14
	v_cndmask_b32_e32 v12, 0, v12, vcc
	v_cmp_nlt_f32_e32 vcc, s8, v11
	v_cndmask_b32_e64 v7, 0, v7, s[0:1]
	v_cmp_nlt_f32_e64 s[0:1], s8, v8
	v_cndmask_b32_e32 v12, v5, v12, vcc
	v_cmp_le_f32_e32 vcc, s12, v11
	v_cndmask_b32_e64 v7, v5, v7, s[0:1]
	v_cmp_le_f32_e64 s[0:1], s12, v8
	v_cndmask_b32_e32 v8, 0, v12, vcc
	s_sub_i32 s4, s4, 32
	v_cndmask_b32_e64 v11, 0, v7, s[0:1]
	v_mul_f32_e32 v7, s15, v8
	v_add_u32_e32 v3, 0xffffe000, v3
	s_cmp_le_i32 s11, s9
	v_fmac_f32_e32 v7, v10, v11
	s_waitcnt vmcnt(0)
	v_mul_f32_e32 v8, v4, v8
	v_fmac_f32_e32 v8, v9, v11
	s_cbranch_scc0 .LBB2_3
	s_branch .LBB2_5
.LBB2_4:
	s_waitcnt lgkmcnt(0)
	v_mov_b32_e32 v7, s5
.LBB2_5:
	s_waitcnt vmcnt(0)
	v_div_scale_f32 v0, s[0:1], v7, v7, v8
	v_div_scale_f32 v3, vcc, v8, v7, v8
	v_rcp_f32_e32 v4, v0
	v_fma_f32 v5, -v0, v4, 1.0
	v_fmac_f32_e32 v4, v5, v4
	v_mul_f32_e32 v5, v3, v4
	v_fma_f32 v6, -v0, v5, v3
	v_fmac_f32_e32 v5, v6, v4
	v_fma_f32 v0, -v0, v5, v3
	v_div_fmas_f32 v0, v0, v4, v5
	v_div_fixup_f32 v0, v0, v7, v8
	global_store_dword v[1:2], v0, off
.LBB2_6:
	s_endpgm
	.section	.rodata,"a",@progbits
	.p2align	6, 0x0
	.amdhsa_kernel _ZL33flash_attn_stream_k_fixup_uniformILi256ELi1ELi32EEvPfPK15HIP_vector_typeIfLj2EEiiiiiiS1_IjLj3EES5_S5_
		.amdhsa_group_segment_fixed_size 0
		.amdhsa_private_segment_fixed_size 0
		.amdhsa_kernarg_size 76
		.amdhsa_user_sgpr_count 6
		.amdhsa_user_sgpr_private_segment_buffer 1
		.amdhsa_user_sgpr_dispatch_ptr 0
		.amdhsa_user_sgpr_queue_ptr 0
		.amdhsa_user_sgpr_kernarg_segment_ptr 1
		.amdhsa_user_sgpr_dispatch_id 0
		.amdhsa_user_sgpr_flat_scratch_init 0
		.amdhsa_user_sgpr_private_segment_size 0
		.amdhsa_uses_dynamic_stack 0
		.amdhsa_system_sgpr_private_segment_wavefront_offset 0
		.amdhsa_system_sgpr_workgroup_id_x 1
		.amdhsa_system_sgpr_workgroup_id_y 1
		.amdhsa_system_sgpr_workgroup_id_z 1
		.amdhsa_system_sgpr_workgroup_info 0
		.amdhsa_system_vgpr_workitem_id 0
		.amdhsa_next_free_vgpr 17
		.amdhsa_next_free_sgpr 20
		.amdhsa_reserve_vcc 1
		.amdhsa_reserve_flat_scratch 0
		.amdhsa_float_round_mode_32 0
		.amdhsa_float_round_mode_16_64 0
		.amdhsa_float_denorm_mode_32 3
		.amdhsa_float_denorm_mode_16_64 3
		.amdhsa_dx10_clamp 1
		.amdhsa_ieee_mode 1
		.amdhsa_fp16_overflow 0
		.amdhsa_exception_fp_ieee_invalid_op 0
		.amdhsa_exception_fp_denorm_src 0
		.amdhsa_exception_fp_ieee_div_zero 0
		.amdhsa_exception_fp_ieee_overflow 0
		.amdhsa_exception_fp_ieee_underflow 0
		.amdhsa_exception_fp_ieee_inexact 0
		.amdhsa_exception_int_div_zero 0
	.end_amdhsa_kernel
	.section	.text._ZL33flash_attn_stream_k_fixup_uniformILi256ELi1ELi32EEvPfPK15HIP_vector_typeIfLj2EEiiiiiiS1_IjLj3EES5_S5_,"axG",@progbits,_ZL33flash_attn_stream_k_fixup_uniformILi256ELi1ELi32EEvPfPK15HIP_vector_typeIfLj2EEiiiiiiS1_IjLj3EES5_S5_,comdat
.Lfunc_end2:
	.size	_ZL33flash_attn_stream_k_fixup_uniformILi256ELi1ELi32EEvPfPK15HIP_vector_typeIfLj2EEiiiiiiS1_IjLj3EES5_S5_, .Lfunc_end2-_ZL33flash_attn_stream_k_fixup_uniformILi256ELi1ELi32EEvPfPK15HIP_vector_typeIfLj2EEiiiiiiS1_IjLj3EES5_S5_
                                        ; -- End function
	.set _ZL33flash_attn_stream_k_fixup_uniformILi256ELi1ELi32EEvPfPK15HIP_vector_typeIfLj2EEiiiiiiS1_IjLj3EES5_S5_.num_vgpr, 17
	.set _ZL33flash_attn_stream_k_fixup_uniformILi256ELi1ELi32EEvPfPK15HIP_vector_typeIfLj2EEiiiiiiS1_IjLj3EES5_S5_.num_agpr, 0
	.set _ZL33flash_attn_stream_k_fixup_uniformILi256ELi1ELi32EEvPfPK15HIP_vector_typeIfLj2EEiiiiiiS1_IjLj3EES5_S5_.numbered_sgpr, 20
	.set _ZL33flash_attn_stream_k_fixup_uniformILi256ELi1ELi32EEvPfPK15HIP_vector_typeIfLj2EEiiiiiiS1_IjLj3EES5_S5_.num_named_barrier, 0
	.set _ZL33flash_attn_stream_k_fixup_uniformILi256ELi1ELi32EEvPfPK15HIP_vector_typeIfLj2EEiiiiiiS1_IjLj3EES5_S5_.private_seg_size, 0
	.set _ZL33flash_attn_stream_k_fixup_uniformILi256ELi1ELi32EEvPfPK15HIP_vector_typeIfLj2EEiiiiiiS1_IjLj3EES5_S5_.uses_vcc, 1
	.set _ZL33flash_attn_stream_k_fixup_uniformILi256ELi1ELi32EEvPfPK15HIP_vector_typeIfLj2EEiiiiiiS1_IjLj3EES5_S5_.uses_flat_scratch, 0
	.set _ZL33flash_attn_stream_k_fixup_uniformILi256ELi1ELi32EEvPfPK15HIP_vector_typeIfLj2EEiiiiiiS1_IjLj3EES5_S5_.has_dyn_sized_stack, 0
	.set _ZL33flash_attn_stream_k_fixup_uniformILi256ELi1ELi32EEvPfPK15HIP_vector_typeIfLj2EEiiiiiiS1_IjLj3EES5_S5_.has_recursion, 0
	.set _ZL33flash_attn_stream_k_fixup_uniformILi256ELi1ELi32EEvPfPK15HIP_vector_typeIfLj2EEiiiiiiS1_IjLj3EES5_S5_.has_indirect_call, 0
	.section	.AMDGPU.csdata,"",@progbits
; Kernel info:
; codeLenInByte = 828
; TotalNumSgprs: 24
; NumVgprs: 17
; ScratchSize: 0
; MemoryBound: 0
; FloatMode: 240
; IeeeMode: 1
; LDSByteSize: 0 bytes/workgroup (compile time only)
; SGPRBlocks: 2
; VGPRBlocks: 4
; NumSGPRsForWavesPerEU: 24
; NumVGPRsForWavesPerEU: 17
; Occupancy: 10
; WaveLimiterHint : 0
; COMPUTE_PGM_RSRC2:SCRATCH_EN: 0
; COMPUTE_PGM_RSRC2:USER_SGPR: 6
; COMPUTE_PGM_RSRC2:TRAP_HANDLER: 0
; COMPUTE_PGM_RSRC2:TGID_X_EN: 1
; COMPUTE_PGM_RSRC2:TGID_Y_EN: 1
; COMPUTE_PGM_RSRC2:TGID_Z_EN: 1
; COMPUTE_PGM_RSRC2:TIDIG_COMP_CNT: 0
	.section	.text._ZL33flash_attn_stream_k_fixup_generalILi256ELi1ELi32EEvPfPK15HIP_vector_typeIfLj2EEiiiiS1_IjLj3EES5_S5_S5_,"axG",@progbits,_ZL33flash_attn_stream_k_fixup_generalILi256ELi1ELi32EEvPfPK15HIP_vector_typeIfLj2EEiiiiS1_IjLj3EES5_S5_S5_,comdat
	.globl	_ZL33flash_attn_stream_k_fixup_generalILi256ELi1ELi32EEvPfPK15HIP_vector_typeIfLj2EEiiiiS1_IjLj3EES5_S5_S5_ ; -- Begin function _ZL33flash_attn_stream_k_fixup_generalILi256ELi1ELi32EEvPfPK15HIP_vector_typeIfLj2EEiiiiS1_IjLj3EES5_S5_S5_
	.p2align	8
	.type	_ZL33flash_attn_stream_k_fixup_generalILi256ELi1ELi32EEvPfPK15HIP_vector_typeIfLj2EEiiiiS1_IjLj3EES5_S5_S5_,@function
_ZL33flash_attn_stream_k_fixup_generalILi256ELi1ELi32EEvPfPK15HIP_vector_typeIfLj2EEiiiiS1_IjLj3EES5_S5_S5_: ; @_ZL33flash_attn_stream_k_fixup_generalILi256ELi1ELi32EEvPfPK15HIP_vector_typeIfLj2EEiiiiS1_IjLj3EES5_S5_S5_
; %bb.0:
	s_load_dwordx4 s[0:3], s[4:5], 0x10
	s_load_dword s9, s[4:5], 0x50
	s_mov_b32 s12, 0
	s_waitcnt lgkmcnt(0)
	s_mul_hi_i32 s13, s3, s6
	s_cmp_lg_u64 s[12:13], 0
	s_mul_i32 s18, s3, s6
	s_cbranch_scc0 .LBB3_20
; %bb.1:
	s_add_u32 s10, s9, 0
	s_addc_u32 s11, 0, 0
	s_xor_b64 s[10:11], s[10:11], 0
	v_cvt_f32_u32_e32 v1, s10
	v_cvt_f32_u32_e32 v2, s11
	s_sub_u32 s12, 0, s10
	s_subb_u32 s19, 0, s11
	v_madmk_f32 v1, v2, 0x4f800000, v1
	v_rcp_f32_e32 v1, v1
	v_mul_f32_e32 v1, 0x5f7ffffc, v1
	v_mul_f32_e32 v2, 0x2f800000, v1
	v_trunc_f32_e32 v2, v2
	v_madmk_f32 v1, v2, 0xcf800000, v1
	v_cvt_u32_f32_e32 v2, v2
	v_cvt_u32_f32_e32 v1, v1
	v_readfirstlane_b32 s20, v2
	v_readfirstlane_b32 s14, v1
	s_mul_i32 s15, s12, s20
	s_mul_hi_u32 s22, s12, s14
	s_mul_i32 s21, s19, s14
	s_add_i32 s15, s22, s15
	s_add_i32 s15, s15, s21
	s_mul_i32 s23, s12, s14
	s_mul_i32 s22, s14, s15
	s_mul_hi_u32 s24, s14, s23
	s_mul_hi_u32 s21, s14, s15
	s_add_u32 s22, s24, s22
	s_addc_u32 s21, 0, s21
	s_mul_hi_u32 s25, s20, s23
	s_mul_i32 s23, s20, s23
	s_add_u32 s22, s22, s23
	s_mul_hi_u32 s24, s20, s15
	s_addc_u32 s21, s21, s25
	s_addc_u32 s22, s24, 0
	s_mul_i32 s15, s20, s15
	s_add_u32 s15, s21, s15
	s_addc_u32 s21, 0, s22
	s_add_u32 s22, s14, s15
	s_cselect_b64 s[14:15], -1, 0
	s_cmp_lg_u64 s[14:15], 0
	s_addc_u32 s20, s20, s21
	s_mul_i32 s14, s12, s20
	s_mul_hi_u32 s15, s12, s22
	s_add_i32 s14, s15, s14
	s_mul_i32 s19, s19, s22
	s_add_i32 s14, s14, s19
	s_mul_i32 s12, s12, s22
	s_mul_hi_u32 s19, s20, s12
	s_mul_i32 s21, s20, s12
	s_mul_i32 s24, s22, s14
	s_mul_hi_u32 s12, s22, s12
	s_mul_hi_u32 s23, s22, s14
	s_add_u32 s12, s12, s24
	s_addc_u32 s23, 0, s23
	s_add_u32 s12, s12, s21
	s_mul_hi_u32 s15, s20, s14
	s_addc_u32 s12, s23, s19
	s_addc_u32 s15, s15, 0
	s_mul_i32 s14, s20, s14
	s_add_u32 s12, s12, s14
	s_addc_u32 s19, 0, s15
	s_add_u32 s21, s22, s12
	s_cselect_b64 s[14:15], -1, 0
	s_cmp_lg_u64 s[14:15], 0
	s_addc_u32 s19, s20, s19
	s_ashr_i32 s14, s13, 31
	s_add_u32 s12, s18, s14
	s_mov_b32 s15, s14
	s_addc_u32 s13, s13, s14
	s_xor_b64 s[12:13], s[12:13], s[14:15]
	s_mul_i32 s22, s12, s19
	s_mul_hi_u32 s23, s12, s21
	s_mul_hi_u32 s20, s12, s19
	s_add_u32 s22, s23, s22
	s_addc_u32 s20, 0, s20
	s_mul_hi_u32 s24, s13, s21
	s_mul_i32 s21, s13, s21
	s_add_u32 s21, s22, s21
	s_mul_hi_u32 s23, s13, s19
	s_addc_u32 s20, s20, s24
	s_addc_u32 s21, s23, 0
	s_mul_i32 s19, s13, s19
	s_add_u32 s19, s20, s19
	s_addc_u32 s24, 0, s21
	s_mul_i32 s20, s10, s24
	s_mul_hi_u32 s21, s10, s19
	s_add_i32 s20, s21, s20
	s_mul_i32 s21, s11, s19
	s_add_i32 s25, s20, s21
	s_sub_i32 s22, s13, s25
	s_mul_i32 s20, s10, s19
	s_sub_u32 s12, s12, s20
	s_cselect_b64 s[20:21], -1, 0
	s_cmp_lg_u64 s[20:21], 0
	s_subb_u32 s26, s22, s11
	s_sub_u32 s27, s12, s10
	s_cselect_b64 s[22:23], -1, 0
	s_cmp_lg_u64 s[22:23], 0
	s_subb_u32 s22, s26, 0
	s_cmp_ge_u32 s22, s11
	s_cselect_b32 s23, -1, 0
	s_cmp_ge_u32 s27, s10
	s_cselect_b32 s26, -1, 0
	s_cmp_eq_u32 s22, s11
	s_cselect_b32 s22, s26, s23
	s_add_u32 s23, s19, 1
	s_addc_u32 s26, s24, 0
	s_add_u32 s27, s19, 2
	s_addc_u32 s28, s24, 0
	s_cmp_lg_u32 s22, 0
	s_cselect_b32 s22, s27, s23
	s_cselect_b32 s23, s28, s26
	s_cmp_lg_u64 s[20:21], 0
	s_subb_u32 s13, s13, s25
	s_cmp_ge_u32 s13, s11
	s_cselect_b32 s20, -1, 0
	s_cmp_ge_u32 s12, s10
	s_cselect_b32 s10, -1, 0
	s_cmp_eq_u32 s13, s11
	s_cselect_b32 s10, s10, s20
	s_cmp_lg_u32 s10, 0
	s_cselect_b32 s11, s23, s24
	s_cselect_b32 s10, s22, s19
	s_xor_b64 s[12:13], s[14:15], 0
	s_xor_b64 s[10:11], s[10:11], s[12:13]
	s_sub_u32 s10, s10, s12
	s_load_dwordx4 s[12:15], s[4:5], 0x44
	s_cbranch_execnz .LBB3_3
.LBB3_2:
	v_cvt_f32_u32_e32 v1, s9
	s_sub_i32 s10, 0, s9
	v_rcp_iflag_f32_e32 v1, v1
	v_mul_f32_e32 v1, 0x4f7ffffe, v1
	v_cvt_u32_f32_e32 v1, v1
	v_readfirstlane_b32 s11, v1
	s_mul_i32 s10, s10, s11
	s_mul_hi_u32 s10, s11, s10
	s_add_i32 s11, s11, s10
	s_mul_hi_u32 s10, s18, s11
	s_waitcnt lgkmcnt(0)
	s_mul_i32 s15, s10, s9
	s_sub_i32 s15, s18, s15
	s_add_i32 s11, s10, 1
	s_sub_i32 s16, s15, s9
	s_cmp_ge_u32 s15, s9
	s_cselect_b32 s10, s11, s10
	s_cselect_b32 s15, s16, s15
	s_add_i32 s11, s10, 1
	s_cmp_ge_u32 s15, s9
	s_cselect_b32 s10, s11, s10
.LBB3_3:
	s_add_i32 s11, s6, 1
	s_mul_hi_i32 s21, s3, s11
	s_mov_b32 s20, 0
	s_cmp_lg_u64 s[20:21], 0
	s_mul_i32 s11, s3, s11
	s_cbranch_scc0 .LBB3_21
; %bb.4:
	s_add_u32 s16, s9, 0
	s_addc_u32 s17, 0, 0
	s_xor_b64 s[18:19], s[16:17], 0
	v_cvt_f32_u32_e32 v1, s18
	v_cvt_f32_u32_e32 v2, s19
	s_waitcnt lgkmcnt(0)
	s_sub_u32 s15, 0, s18
	s_subb_u32 s20, 0, s19
	v_madmk_f32 v1, v2, 0x4f800000, v1
	v_rcp_f32_e32 v1, v1
	v_mul_f32_e32 v1, 0x5f7ffffc, v1
	v_mul_f32_e32 v2, 0x2f800000, v1
	v_trunc_f32_e32 v2, v2
	v_madmk_f32 v1, v2, 0xcf800000, v1
	v_cvt_u32_f32_e32 v2, v2
	v_cvt_u32_f32_e32 v1, v1
	v_readfirstlane_b32 s24, v2
	v_readfirstlane_b32 s22, v1
	s_mul_i32 s23, s15, s24
	s_mul_hi_u32 s26, s15, s22
	s_mul_i32 s25, s20, s22
	s_add_i32 s23, s26, s23
	s_add_i32 s23, s23, s25
	s_mul_i32 s27, s15, s22
	s_mul_i32 s26, s22, s23
	s_mul_hi_u32 s28, s22, s27
	s_mul_hi_u32 s25, s22, s23
	s_add_u32 s26, s28, s26
	s_addc_u32 s25, 0, s25
	s_mul_hi_u32 s29, s24, s27
	s_mul_i32 s27, s24, s27
	s_add_u32 s26, s26, s27
	s_mul_hi_u32 s28, s24, s23
	s_addc_u32 s25, s25, s29
	s_addc_u32 s26, s28, 0
	s_mul_i32 s23, s24, s23
	s_add_u32 s23, s25, s23
	s_addc_u32 s25, 0, s26
	s_add_u32 s26, s22, s23
	s_cselect_b64 s[22:23], -1, 0
	s_cmp_lg_u64 s[22:23], 0
	s_addc_u32 s24, s24, s25
	s_mul_i32 s22, s15, s24
	s_mul_hi_u32 s23, s15, s26
	s_add_i32 s22, s23, s22
	s_mul_i32 s20, s20, s26
	s_add_i32 s22, s22, s20
	s_mul_i32 s15, s15, s26
	s_mul_hi_u32 s23, s24, s15
	s_mul_i32 s25, s24, s15
	s_mul_i32 s28, s26, s22
	s_mul_hi_u32 s15, s26, s15
	s_mul_hi_u32 s27, s26, s22
	s_add_u32 s15, s15, s28
	s_addc_u32 s27, 0, s27
	s_add_u32 s15, s15, s25
	s_mul_hi_u32 s20, s24, s22
	s_addc_u32 s15, s27, s23
	s_addc_u32 s20, s20, 0
	s_mul_i32 s22, s24, s22
	s_add_u32 s15, s15, s22
	s_addc_u32 s20, 0, s20
	s_add_u32 s15, s26, s15
	s_cselect_b64 s[22:23], -1, 0
	s_cmp_lg_u64 s[22:23], 0
	s_addc_u32 s24, s24, s20
	s_ashr_i32 s22, s21, 31
	s_add_u32 s20, s11, s22
	s_mov_b32 s23, s22
	s_addc_u32 s21, s21, s22
	s_xor_b64 s[20:21], s[20:21], s[22:23]
	s_mul_i32 s26, s20, s24
	s_mul_hi_u32 s27, s20, s15
	s_mul_hi_u32 s25, s20, s24
	s_add_u32 s26, s27, s26
	s_addc_u32 s25, 0, s25
	s_mul_hi_u32 s28, s21, s15
	s_mul_i32 s15, s21, s15
	s_add_u32 s15, s26, s15
	s_mul_hi_u32 s27, s21, s24
	s_addc_u32 s15, s25, s28
	s_addc_u32 s25, s27, 0
	s_mul_i32 s24, s21, s24
	s_add_u32 s15, s15, s24
	s_addc_u32 s28, 0, s25
	s_mul_i32 s24, s18, s28
	s_mul_hi_u32 s25, s18, s15
	s_add_i32 s24, s25, s24
	s_mul_i32 s25, s19, s15
	s_add_i32 s29, s24, s25
	s_sub_i32 s26, s21, s29
	s_mul_i32 s24, s18, s15
	s_sub_u32 s20, s20, s24
	s_cselect_b64 s[24:25], -1, 0
	s_cmp_lg_u64 s[24:25], 0
	s_subb_u32 s30, s26, s19
	s_sub_u32 s31, s20, s18
	s_cselect_b64 s[26:27], -1, 0
	s_cmp_lg_u64 s[26:27], 0
	s_subb_u32 s26, s30, 0
	s_cmp_ge_u32 s26, s19
	s_cselect_b32 s27, -1, 0
	s_cmp_ge_u32 s31, s18
	s_cselect_b32 s30, -1, 0
	s_cmp_eq_u32 s26, s19
	s_cselect_b32 s26, s30, s27
	s_add_u32 s27, s15, 1
	s_addc_u32 s30, s28, 0
	s_add_u32 s31, s15, 2
	s_addc_u32 s33, s28, 0
	s_cmp_lg_u32 s26, 0
	s_cselect_b32 s26, s31, s27
	s_cselect_b32 s27, s33, s30
	s_cmp_lg_u64 s[24:25], 0
	s_subb_u32 s21, s21, s29
	s_cmp_ge_u32 s21, s19
	s_cselect_b32 s24, -1, 0
	s_cmp_ge_u32 s20, s18
	s_cselect_b32 s18, -1, 0
	s_cmp_eq_u32 s21, s19
	s_cselect_b32 s18, s18, s24
	s_cmp_lg_u32 s18, 0
	s_cselect_b32 s19, s27, s28
	s_cselect_b32 s18, s26, s15
	s_xor_b64 s[20:21], s[22:23], 0
	s_xor_b64 s[18:19], s[18:19], s[20:21]
	s_sub_u32 s18, s18, s20
	s_cbranch_execnz .LBB3_6
.LBB3_5:
	v_cvt_f32_u32_e32 v1, s9
	s_waitcnt lgkmcnt(0)
	s_sub_i32 s15, 0, s9
	v_rcp_iflag_f32_e32 v1, v1
	v_mul_f32_e32 v1, 0x4f7ffffe, v1
	v_cvt_u32_f32_e32 v1, v1
	v_readfirstlane_b32 s16, v1
	s_mul_i32 s15, s15, s16
	s_mul_hi_u32 s15, s16, s15
	s_add_i32 s16, s16, s15
	s_mul_hi_u32 s15, s11, s16
	s_mul_i32 s17, s15, s9
	s_sub_i32 s11, s11, s17
	s_add_i32 s16, s15, 1
	s_sub_i32 s17, s11, s9
	s_cmp_ge_u32 s11, s9
	s_cselect_b32 s15, s16, s15
	s_cselect_b32 s11, s17, s11
	s_add_i32 s16, s15, 1
	s_cmp_ge_u32 s11, s9
	s_cselect_b32 s18, s16, s15
.LBB3_6:
	s_cmp_eq_u32 s10, s18
	s_waitcnt lgkmcnt(0)
	s_mul_hi_u32 s11, s10, s12
	s_cselect_b64 s[16:17], -1, 0
	s_add_i32 s11, s11, s10
	s_lshr_b32 s11, s11, s13
	s_mul_i32 s15, s11, s14
	s_cmp_eq_u32 s15, s10
	s_mul_hi_u32 s15, s18, s12
	s_cselect_b64 s[20:21], -1, 0
	s_add_i32 s15, s15, s18
	s_lshr_b32 s15, s15, s13
	s_cmp_eq_u32 s11, s15
	s_mul_i32 s15, s15, s14
	s_cselect_b64 s[22:23], -1, 0
	s_cmp_lg_u32 s15, s18
	s_cselect_b64 s[18:19], -1, 0
	s_and_b64 s[18:19], s[22:23], s[18:19]
	s_or_b64 s[16:17], s[16:17], s[20:21]
	s_or_b64 s[16:17], s[16:17], s[18:19]
	s_and_b64 vcc, exec, s[16:17]
	s_cbranch_vccnz .LBB3_23
; %bb.7:
	s_load_dwordx8 s[20:27], s[4:5], 0x20
	s_load_dword s15, s[4:5], 0x40
	s_waitcnt lgkmcnt(0)
	s_mul_hi_u32 s16, s10, s20
	s_add_i32 s16, s16, s10
	s_lshr_b32 s20, s16, s21
	s_mul_i32 s16, s20, s22
	s_sub_i32 s16, s10, s16
	s_mul_hi_u32 s17, s16, s23
	s_add_i32 s17, s16, s17
	s_lshr_b32 s21, s17, s24
	s_mul_i32 s17, s21, s25
	s_sub_i32 s16, s16, s17
	s_mul_hi_u32 s17, s16, s26
	s_add_i32 s17, s16, s17
	s_lshr_b32 s17, s17, s27
	s_mul_i32 s15, s17, s15
	s_sub_i32 s15, s16, s15
	s_mul_hi_u32 s16, s15, s12
	s_add_i32 s15, s15, s16
	s_lshr_b32 s23, s15, s13
	s_lshl_b32 s24, s17, 5
	s_add_i32 s23, s23, s7
	s_cmp_lt_i32 s23, s0
	s_cselect_b64 s[16:17], -1, 0
	s_add_i32 s24, s24, s8
	s_cmp_lt_i32 s24, s2
	s_cselect_b64 s[18:19], -1, 0
	s_and_b64 s[16:17], s[16:17], s[18:19]
	s_andn2_b64 vcc, exec, s[16:17]
	s_cbranch_vccnz .LBB3_23
; %bb.8:
	s_load_dwordx4 s[16:19], s[4:5], 0x0
	s_mov_b32 s4, 0
	s_lshl_b32 s26, s9, 7
	s_mov_b32 s27, s4
	s_lshl_b64 s[26:27], s[26:27], 2
	s_waitcnt lgkmcnt(0)
	s_add_u32 s15, s18, s26
	s_mul_i32 s20, s20, s0
	s_addc_u32 s22, s19, s27
	s_mul_i32 s21, s21, s2
	s_add_i32 s0, s23, s20
	s_mul_i32 s0, s0, s1
	s_add_i32 s1, s24, s21
	s_add_i32 s1, s1, s0
	v_lshl_or_b32 v1, s1, 8, v0
	v_ashrrev_i32_e32 v2, 31, v1
	v_lshlrev_b64 v[1:2], 2, v[1:2]
	v_mov_b32_e32 v3, s17
	v_add_co_u32_e32 v1, vcc, s16, v1
	v_addc_co_u32_e32 v2, vcc, v3, v2, vcc
	global_load_dword v3, v[1:2], off
	s_add_i32 s0, s7, s6
	v_cvt_f32_u32_e32 v4, s9
	s_lshl_b32 s0, s0, 5
	s_add_i32 s0, s0, s8
	s_ashr_i32 s1, s0, 31
	s_lshl_b64 s[0:1], s[0:1], 3
	v_rcp_iflag_f32_e32 v4, v4
	s_add_u32 s0, s18, s0
	s_addc_u32 s1, s19, s1
	s_load_dwordx2 s[0:1], s[0:1], 0x0
	v_mul_f32_e32 v4, 0x4f7ffffe, v4
	v_cvt_u32_f32_e32 v4, v4
	s_add_i32 s25, s6, -1
	v_lshl_or_b32 v0, s8, 8, v0
	s_waitcnt lgkmcnt(0)
	v_mov_b32_e32 v6, s1
	v_mov_b32_e32 v7, s0
	s_mov_b32 s2, 0x3fb8aa3b
	s_mov_b32 s6, 0xc2ce8ed0
	;; [unrolled: 1-line block ×4, first 2 shown]
	v_mov_b32_e32 v5, 0x7f800000
	s_mul_hi_i32 s5, s25, s3
	s_cmp_lg_u64 s[4:5], 0
	s_mul_i32 s20, s25, s3
	s_cbranch_scc0 .LBB3_19
.LBB3_9:
	s_add_u32 s0, s9, 0
	s_addc_u32 s1, 0, 0
	s_xor_b64 s[0:1], s[0:1], 0
	v_cvt_f32_u32_e32 v8, s0
	v_cvt_f32_u32_e32 v9, s1
	s_sub_u32 s21, 0, s0
	s_subb_u32 s26, 0, s1
	v_mac_f32_e32 v8, 0x4f800000, v9
	v_rcp_f32_e32 v8, v8
	v_mul_f32_e32 v8, 0x5f7ffffc, v8
	v_mul_f32_e32 v9, 0x2f800000, v8
	v_trunc_f32_e32 v9, v9
	v_mac_f32_e32 v8, 0xcf800000, v9
	v_cvt_u32_f32_e32 v9, v9
	v_cvt_u32_f32_e32 v8, v8
	v_readfirstlane_b32 s27, v9
	v_readfirstlane_b32 s16, v8
	s_mul_i32 s17, s21, s27
	s_mul_hi_u32 s29, s21, s16
	s_mul_i32 s28, s26, s16
	s_add_i32 s17, s29, s17
	s_mul_i32 s30, s21, s16
	s_add_i32 s17, s17, s28
	s_mul_i32 s29, s16, s17
	s_mul_hi_u32 s31, s16, s30
	s_mul_hi_u32 s28, s16, s17
	s_add_u32 s29, s31, s29
	s_addc_u32 s28, 0, s28
	s_mul_hi_u32 s33, s27, s30
	s_mul_i32 s30, s27, s30
	s_add_u32 s29, s29, s30
	s_mul_hi_u32 s31, s27, s17
	s_addc_u32 s28, s28, s33
	s_addc_u32 s29, s31, 0
	s_mul_i32 s17, s27, s17
	s_add_u32 s17, s28, s17
	s_addc_u32 s28, 0, s29
	s_add_u32 s29, s16, s17
	s_cselect_b64 s[16:17], -1, 0
	s_cmp_lg_u64 s[16:17], 0
	s_addc_u32 s27, s27, s28
	s_mul_i32 s16, s21, s27
	s_mul_hi_u32 s17, s21, s29
	s_add_i32 s16, s17, s16
	s_mul_i32 s26, s26, s29
	s_add_i32 s16, s16, s26
	s_mul_i32 s21, s21, s29
	s_mul_hi_u32 s26, s27, s21
	s_mul_i32 s28, s27, s21
	s_mul_i32 s31, s29, s16
	s_mul_hi_u32 s21, s29, s21
	s_mul_hi_u32 s30, s29, s16
	s_add_u32 s21, s21, s31
	s_addc_u32 s30, 0, s30
	s_add_u32 s21, s21, s28
	s_mul_hi_u32 s17, s27, s16
	s_addc_u32 s21, s30, s26
	s_addc_u32 s17, s17, 0
	s_mul_i32 s16, s27, s16
	s_add_u32 s16, s21, s16
	s_addc_u32 s21, 0, s17
	s_add_u32 s28, s29, s16
	s_cselect_b64 s[16:17], -1, 0
	s_cmp_lg_u64 s[16:17], 0
	s_addc_u32 s21, s27, s21
	s_ashr_i32 s16, s5, 31
	s_add_u32 s26, s20, s16
	s_mov_b32 s17, s16
	s_addc_u32 s27, s5, s16
	s_xor_b64 s[26:27], s[26:27], s[16:17]
	s_mul_i32 s29, s26, s21
	s_mul_hi_u32 s30, s26, s28
	s_mul_hi_u32 s5, s26, s21
	s_add_u32 s29, s30, s29
	s_addc_u32 s5, 0, s5
	s_mul_hi_u32 s31, s27, s28
	s_mul_i32 s28, s27, s28
	s_add_u32 s28, s29, s28
	s_mul_hi_u32 s30, s27, s21
	s_addc_u32 s5, s5, s31
	s_addc_u32 s28, s30, 0
	s_mul_i32 s21, s27, s21
	s_add_u32 s5, s5, s21
	s_addc_u32 s21, 0, s28
	s_mul_i32 s28, s0, s21
	s_mul_hi_u32 s29, s0, s5
	s_add_i32 s28, s29, s28
	s_mul_i32 s29, s1, s5
	s_add_i32 s33, s28, s29
	s_sub_i32 s30, s27, s33
	s_mul_i32 s28, s0, s5
	s_sub_u32 s26, s26, s28
	s_cselect_b64 s[28:29], -1, 0
	s_cmp_lg_u64 s[28:29], 0
	s_subb_u32 s34, s30, s1
	s_sub_u32 s35, s26, s0
	s_cselect_b64 s[30:31], -1, 0
	s_cmp_lg_u64 s[30:31], 0
	s_subb_u32 s30, s34, 0
	s_cmp_ge_u32 s30, s1
	s_cselect_b32 s31, -1, 0
	s_cmp_ge_u32 s35, s0
	s_cselect_b32 s34, -1, 0
	s_cmp_eq_u32 s30, s1
	s_cselect_b32 s30, s34, s31
	s_add_u32 s31, s5, 1
	s_addc_u32 s34, s21, 0
	s_add_u32 s35, s5, 2
	s_addc_u32 s36, s21, 0
	s_cmp_lg_u32 s30, 0
	s_cselect_b32 s30, s35, s31
	s_cselect_b32 s31, s36, s34
	s_cmp_lg_u64 s[28:29], 0
	s_subb_u32 s27, s27, s33
	s_cmp_ge_u32 s27, s1
	s_cselect_b32 s28, -1, 0
	s_cmp_ge_u32 s26, s0
	s_cselect_b32 s0, -1, 0
	s_cmp_eq_u32 s27, s1
	s_cselect_b32 s0, s0, s28
	s_cmp_lg_u32 s0, 0
	s_cselect_b32 s1, s31, s21
	s_cselect_b32 s0, s30, s5
	s_xor_b64 s[16:17], s[16:17], 0
	s_xor_b64 s[0:1], s[0:1], s[16:17]
	s_sub_u32 s16, s0, s16
	s_cbranch_execnz .LBB3_11
.LBB3_10:
	s_sub_i32 s0, 0, s9
	v_readfirstlane_b32 s1, v4
	s_mul_i32 s0, s0, s1
	s_mul_hi_u32 s0, s1, s0
	s_add_i32 s1, s1, s0
	s_mul_hi_u32 s0, s20, s1
	s_mul_i32 s5, s0, s9
	s_sub_i32 s5, s20, s5
	s_add_i32 s1, s0, 1
	s_sub_i32 s16, s5, s9
	s_cmp_ge_u32 s5, s9
	s_cselect_b32 s0, s1, s0
	s_cselect_b32 s5, s16, s5
	s_add_i32 s1, s0, 1
	s_cmp_ge_u32 s5, s9
	s_cselect_b32 s16, s1, s0
.LBB3_11:
	s_cmp_lg_u32 s10, s16
	s_mov_b64 s[20:21], -1
                                        ; implicit-def: $sgpr0_sgpr1
                                        ; implicit-def: $vgpr10
                                        ; implicit-def: $vgpr8
                                        ; implicit-def: $vgpr9
                                        ; implicit-def: $sgpr5
                                        ; implicit-def: $sgpr17
	s_cbranch_scc1 .LBB3_14
; %bb.12:
	s_andn2_b64 vcc, exec, s[20:21]
	s_cbranch_vccz .LBB3_17
.LBB3_13:
	s_andn2_b64 vcc, exec, s[0:1]
	s_cbranch_vccnz .LBB3_18
	s_branch .LBB3_22
.LBB3_14:
	s_add_i32 s26, s25, s7
	s_add_i32 s0, s26, s9
	s_lshl_b32 s0, s0, 5
	s_add_i32 s0, s0, s8
	s_mov_b32 s1, s4
	s_lshl_b64 s[0:1], s[0:1], 3
	s_add_u32 s20, s18, s0
	s_mul_hi_u32 s0, s16, s12
	s_addc_u32 s21, s19, s1
	s_add_i32 s0, s0, s16
	s_lshr_b32 s5, s0, s13
	s_mul_i32 s0, s5, s14
	s_cmp_eq_u32 s0, s16
	s_cselect_b64 s[0:1], -1, 0
	s_cmp_lt_u32 s5, s11
	s_cselect_b64 s[28:29], -1, 0
	s_or_b64 s[28:29], s[28:29], s[0:1]
	s_mov_b64 s[0:1], -1
	s_and_b64 vcc, exec, s[28:29]
	s_mov_b32 s5, s25
	s_mov_b32 s17, s10
	s_cbranch_vccnz .LBB3_16
; %bb.15:
	s_add_i32 s5, s25, -1
	s_mov_b64 s[0:1], 0
	s_mov_b32 s17, s16
.LBB3_16:
	v_lshl_add_u32 v8, s26, 13, v0
	v_ashrrev_i32_e32 v9, 31, v8
	v_lshlrev_b64 v[8:9], 2, v[8:9]
	v_mov_b32_e32 v10, s22
	v_add_co_u32_e32 v8, vcc, s15, v8
	v_addc_co_u32_e32 v9, vcc, v10, v9, vcc
	global_load_dword v10, v[8:9], off
	s_load_dwordx2 s[20:21], s[20:21], 0x0
	v_max_f32_e32 v8, v7, v7
	s_waitcnt lgkmcnt(0)
	v_max_f32_e64 v9, s20, s20
	v_max_f32_e32 v8, v8, v9
	v_sub_f32_e32 v9, v7, v8
	v_sub_f32_e32 v11, s20, v8
	v_mul_f32_e32 v12, 0x3fb8aa3b, v9
	v_mul_f32_e32 v13, 0x3fb8aa3b, v11
	v_fma_f32 v14, v9, s2, -v12
	v_rndne_f32_e32 v15, v12
	v_fma_f32 v16, v11, s2, -v13
	v_rndne_f32_e32 v17, v13
	v_fmac_f32_e32 v14, 0x32a5705f, v9
	v_sub_f32_e32 v12, v12, v15
	v_fmac_f32_e32 v16, 0x32a5705f, v11
	v_sub_f32_e32 v13, v13, v17
	v_add_f32_e32 v12, v12, v14
	v_cvt_i32_f32_e32 v15, v15
	v_add_f32_e32 v13, v13, v16
	v_exp_f32_e32 v12, v12
	v_cvt_i32_f32_e32 v17, v17
	v_exp_f32_e32 v13, v13
	v_cmp_ngt_f32_e32 vcc, s6, v9
	v_ldexp_f32 v12, v12, v15
	v_cndmask_b32_e32 v12, 0, v12, vcc
	v_ldexp_f32 v13, v13, v17
	v_cmp_ngt_f32_e32 vcc, s6, v11
	v_cndmask_b32_e32 v13, 0, v13, vcc
	v_cmp_nlt_f32_e32 vcc, s23, v9
	v_cndmask_b32_e32 v12, v5, v12, vcc
	v_cmp_nlt_f32_e32 vcc, s23, v11
	v_cndmask_b32_e32 v13, v5, v13, vcc
	v_cmp_le_f32_e32 vcc, s24, v9
	v_cndmask_b32_e32 v12, 0, v12, vcc
	v_cmp_le_f32_e32 vcc, s24, v11
	v_cndmask_b32_e32 v11, 0, v13, vcc
	v_mul_f32_e32 v9, s21, v11
	v_fmac_f32_e32 v9, v6, v12
	s_waitcnt vmcnt(0)
	v_mul_f32_e32 v10, v10, v11
	v_fmac_f32_e32 v10, v3, v12
	s_cbranch_execnz .LBB3_13
.LBB3_17:
	s_add_i32 s5, s25, -1
	s_mov_b32 s17, s10
	v_mov_b32_e32 v9, v6
	v_mov_b32_e32 v8, v7
	s_waitcnt vmcnt(0)
	v_mov_b32_e32 v10, v3
	s_cbranch_execz .LBB3_22
.LBB3_18:
	s_mov_b32 s10, s17
	s_mov_b32 s25, s5
	v_mov_b32_e32 v6, v9
	v_mov_b32_e32 v7, v8
	s_waitcnt vmcnt(0)
	v_mov_b32_e32 v3, v10
	s_mul_hi_i32 s5, s25, s3
	s_cmp_lg_u64 s[4:5], 0
	s_mul_i32 s20, s25, s3
	s_cbranch_scc1 .LBB3_9
.LBB3_19:
                                        ; implicit-def: $sgpr16_sgpr17
	s_branch .LBB3_10
.LBB3_20:
                                        ; implicit-def: $sgpr10_sgpr11
	s_load_dwordx4 s[12:15], s[4:5], 0x44
	s_branch .LBB3_2
.LBB3_21:
                                        ; implicit-def: $sgpr18_sgpr19
	s_branch .LBB3_5
.LBB3_22:
	v_div_scale_f32 v0, s[0:1], v9, v9, v10
	s_waitcnt vmcnt(0)
	v_div_scale_f32 v3, vcc, v10, v9, v10
	v_rcp_f32_e32 v4, v0
	v_fma_f32 v5, -v0, v4, 1.0
	v_fmac_f32_e32 v4, v5, v4
	v_mul_f32_e32 v5, v3, v4
	v_fma_f32 v6, -v0, v5, v3
	v_fmac_f32_e32 v5, v6, v4
	v_fma_f32 v0, -v0, v5, v3
	v_div_fmas_f32 v0, v0, v4, v5
	v_div_fixup_f32 v0, v0, v9, v10
	global_store_dword v[1:2], v0, off
.LBB3_23:
	s_endpgm
	.section	.rodata,"a",@progbits
	.p2align	6, 0x0
	.amdhsa_kernel _ZL33flash_attn_stream_k_fixup_generalILi256ELi1ELi32EEvPfPK15HIP_vector_typeIfLj2EEiiiiS1_IjLj3EES5_S5_S5_
		.amdhsa_group_segment_fixed_size 0
		.amdhsa_private_segment_fixed_size 0
		.amdhsa_kernarg_size 336
		.amdhsa_user_sgpr_count 6
		.amdhsa_user_sgpr_private_segment_buffer 1
		.amdhsa_user_sgpr_dispatch_ptr 0
		.amdhsa_user_sgpr_queue_ptr 0
		.amdhsa_user_sgpr_kernarg_segment_ptr 1
		.amdhsa_user_sgpr_dispatch_id 0
		.amdhsa_user_sgpr_flat_scratch_init 0
		.amdhsa_user_sgpr_private_segment_size 0
		.amdhsa_uses_dynamic_stack 0
		.amdhsa_system_sgpr_private_segment_wavefront_offset 0
		.amdhsa_system_sgpr_workgroup_id_x 1
		.amdhsa_system_sgpr_workgroup_id_y 1
		.amdhsa_system_sgpr_workgroup_id_z 1
		.amdhsa_system_sgpr_workgroup_info 0
		.amdhsa_system_vgpr_workitem_id 0
		.amdhsa_next_free_vgpr 18
		.amdhsa_next_free_sgpr 37
		.amdhsa_reserve_vcc 1
		.amdhsa_reserve_flat_scratch 0
		.amdhsa_float_round_mode_32 0
		.amdhsa_float_round_mode_16_64 0
		.amdhsa_float_denorm_mode_32 3
		.amdhsa_float_denorm_mode_16_64 3
		.amdhsa_dx10_clamp 1
		.amdhsa_ieee_mode 1
		.amdhsa_fp16_overflow 0
		.amdhsa_exception_fp_ieee_invalid_op 0
		.amdhsa_exception_fp_denorm_src 0
		.amdhsa_exception_fp_ieee_div_zero 0
		.amdhsa_exception_fp_ieee_overflow 0
		.amdhsa_exception_fp_ieee_underflow 0
		.amdhsa_exception_fp_ieee_inexact 0
		.amdhsa_exception_int_div_zero 0
	.end_amdhsa_kernel
	.section	.text._ZL33flash_attn_stream_k_fixup_generalILi256ELi1ELi32EEvPfPK15HIP_vector_typeIfLj2EEiiiiS1_IjLj3EES5_S5_S5_,"axG",@progbits,_ZL33flash_attn_stream_k_fixup_generalILi256ELi1ELi32EEvPfPK15HIP_vector_typeIfLj2EEiiiiS1_IjLj3EES5_S5_S5_,comdat
.Lfunc_end3:
	.size	_ZL33flash_attn_stream_k_fixup_generalILi256ELi1ELi32EEvPfPK15HIP_vector_typeIfLj2EEiiiiS1_IjLj3EES5_S5_S5_, .Lfunc_end3-_ZL33flash_attn_stream_k_fixup_generalILi256ELi1ELi32EEvPfPK15HIP_vector_typeIfLj2EEiiiiS1_IjLj3EES5_S5_S5_
                                        ; -- End function
	.set _ZL33flash_attn_stream_k_fixup_generalILi256ELi1ELi32EEvPfPK15HIP_vector_typeIfLj2EEiiiiS1_IjLj3EES5_S5_S5_.num_vgpr, 18
	.set _ZL33flash_attn_stream_k_fixup_generalILi256ELi1ELi32EEvPfPK15HIP_vector_typeIfLj2EEiiiiS1_IjLj3EES5_S5_S5_.num_agpr, 0
	.set _ZL33flash_attn_stream_k_fixup_generalILi256ELi1ELi32EEvPfPK15HIP_vector_typeIfLj2EEiiiiS1_IjLj3EES5_S5_S5_.numbered_sgpr, 37
	.set _ZL33flash_attn_stream_k_fixup_generalILi256ELi1ELi32EEvPfPK15HIP_vector_typeIfLj2EEiiiiS1_IjLj3EES5_S5_S5_.num_named_barrier, 0
	.set _ZL33flash_attn_stream_k_fixup_generalILi256ELi1ELi32EEvPfPK15HIP_vector_typeIfLj2EEiiiiS1_IjLj3EES5_S5_S5_.private_seg_size, 0
	.set _ZL33flash_attn_stream_k_fixup_generalILi256ELi1ELi32EEvPfPK15HIP_vector_typeIfLj2EEiiiiS1_IjLj3EES5_S5_S5_.uses_vcc, 1
	.set _ZL33flash_attn_stream_k_fixup_generalILi256ELi1ELi32EEvPfPK15HIP_vector_typeIfLj2EEiiiiS1_IjLj3EES5_S5_S5_.uses_flat_scratch, 0
	.set _ZL33flash_attn_stream_k_fixup_generalILi256ELi1ELi32EEvPfPK15HIP_vector_typeIfLj2EEiiiiS1_IjLj3EES5_S5_S5_.has_dyn_sized_stack, 0
	.set _ZL33flash_attn_stream_k_fixup_generalILi256ELi1ELi32EEvPfPK15HIP_vector_typeIfLj2EEiiiiS1_IjLj3EES5_S5_S5_.has_recursion, 0
	.set _ZL33flash_attn_stream_k_fixup_generalILi256ELi1ELi32EEvPfPK15HIP_vector_typeIfLj2EEiiiiS1_IjLj3EES5_S5_S5_.has_indirect_call, 0
	.section	.AMDGPU.csdata,"",@progbits
; Kernel info:
; codeLenInByte = 2920
; TotalNumSgprs: 41
; NumVgprs: 18
; ScratchSize: 0
; MemoryBound: 0
; FloatMode: 240
; IeeeMode: 1
; LDSByteSize: 0 bytes/workgroup (compile time only)
; SGPRBlocks: 5
; VGPRBlocks: 4
; NumSGPRsForWavesPerEU: 41
; NumVGPRsForWavesPerEU: 18
; Occupancy: 10
; WaveLimiterHint : 0
; COMPUTE_PGM_RSRC2:SCRATCH_EN: 0
; COMPUTE_PGM_RSRC2:USER_SGPR: 6
; COMPUTE_PGM_RSRC2:TRAP_HANDLER: 0
; COMPUTE_PGM_RSRC2:TGID_X_EN: 1
; COMPUTE_PGM_RSRC2:TGID_Y_EN: 1
; COMPUTE_PGM_RSRC2:TGID_Z_EN: 1
; COMPUTE_PGM_RSRC2:TIDIG_COMP_CNT: 0
	.section	.text._ZL26flash_attn_combine_resultsILi256EEvPKfPK15HIP_vector_typeIfLj2EEPfi,"axG",@progbits,_ZL26flash_attn_combine_resultsILi256EEvPKfPK15HIP_vector_typeIfLj2EEPfi,comdat
	.globl	_ZL26flash_attn_combine_resultsILi256EEvPKfPK15HIP_vector_typeIfLj2EEPfi ; -- Begin function _ZL26flash_attn_combine_resultsILi256EEvPKfPK15HIP_vector_typeIfLj2EEPfi
	.p2align	8
	.type	_ZL26flash_attn_combine_resultsILi256EEvPKfPK15HIP_vector_typeIfLj2EEPfi,@function
_ZL26flash_attn_combine_resultsILi256EEvPKfPK15HIP_vector_typeIfLj2EEPfi: ; @_ZL26flash_attn_combine_resultsILi256EEvPKfPK15HIP_vector_typeIfLj2EEPfi
; %bb.0:
	s_load_dwordx2 s[12:13], s[4:5], 0x20
	s_load_dword s9, s[4:5], 0x18
	s_load_dwordx4 s[0:3], s[4:5], 0x0
	s_load_dwordx2 s[10:11], s[4:5], 0x10
	v_lshlrev_b32_e32 v4, 2, v0
	s_waitcnt lgkmcnt(0)
	s_mul_i32 s4, s12, s8
	s_add_i32 s4, s4, s6
	s_mul_i32 s8, s4, s13
	s_add_i32 s8, s8, s7
	s_lshl_b32 s12, s9, 1
	s_mul_i32 s4, s8, s9
	v_cmp_gt_i32_e32 vcc, s12, v0
	s_and_saveexec_b64 s[6:7], vcc
	s_cbranch_execz .LBB4_3
; %bb.1:
	s_ashr_i32 s5, s4, 31
	s_lshl_b64 s[14:15], s[4:5], 3
	s_add_u32 s2, s2, s14
	s_addc_u32 s3, s3, s15
	v_mov_b32_e32 v2, s3
	v_add_co_u32_e32 v1, vcc, s2, v4
	v_addc_co_u32_e32 v2, vcc, 0, v2, vcc
	v_add_u32_e32 v3, 0, v4
	s_mov_b64 s[2:3], 0
	v_mov_b32_e32 v5, v0
.LBB4_2:                                ; =>This Inner Loop Header: Depth=1
	global_load_dword v6, v[1:2], off
	v_add_co_u32_e32 v1, vcc, 0x400, v1
	v_add_u32_e32 v5, 0x100, v5
	v_addc_co_u32_e32 v2, vcc, 0, v2, vcc
	v_cmp_le_i32_e32 vcc, s12, v5
	s_or_b64 s[2:3], vcc, s[2:3]
	s_waitcnt vmcnt(0)
	ds_write_b32 v3, v6
	v_add_u32_e32 v3, 0x400, v3
	s_andn2_b64 exec, exec, s[2:3]
	s_cbranch_execnz .LBB4_2
.LBB4_3:
	s_or_b64 exec, exec, s[6:7]
	v_mov_b32_e32 v1, 0
	s_waitcnt lgkmcnt(0)
	s_barrier
	ds_read_b32 v5, v1
	s_cmp_lt_i32 s9, 2
	s_cbranch_scc1 .LBB4_11
; %bb.4:
	s_add_i32 s2, s9, -1
	s_add_i32 s3, s9, -2
	s_cmp_lt_u32 s3, 7
	s_cbranch_scc1 .LBB4_8
; %bb.5:
	s_mov_b32 s6, 0
	s_add_i32 s3, 0, 8
	s_and_b32 s5, s2, -8
.LBB4_6:                                ; =>This Inner Loop Header: Depth=1
	v_mov_b32_e32 v3, s3
	ds_read2_b32 v[1:2], v3 offset1:2
	ds_read2_b32 v[6:7], v3 offset0:4 offset1:6
	ds_read2_b32 v[8:9], v3 offset0:8 offset1:10
	;; [unrolled: 1-line block ×3, first 2 shown]
	s_mov_b32 s7, s6
	s_waitcnt lgkmcnt(3)
	v_max3_f32 v1, v5, v1, v2
	s_waitcnt lgkmcnt(2)
	v_max3_f32 v1, v1, v6, v7
	s_add_i32 s3, s3, 64
	s_add_i32 s6, s6, 8
	s_waitcnt lgkmcnt(1)
	v_max3_f32 v1, v1, v8, v9
	s_cmp_eq_u32 s5, s6
	s_waitcnt lgkmcnt(0)
	v_max3_f32 v5, v1, v10, v11
	s_cbranch_scc0 .LBB4_6
; %bb.7:
	s_add_i32 s3, s7, 9
	s_and_b32 s2, s2, 7
	s_cmp_eq_u32 s2, 0
	s_cbranch_scc0 .LBB4_9
	s_branch .LBB4_11
.LBB4_8:
	s_mov_b32 s3, 1
	s_and_b32 s2, s2, 7
	s_cmp_eq_u32 s2, 0
	s_cbranch_scc1 .LBB4_11
.LBB4_9:
	s_lshl_b32 s3, s3, 3
	s_add_i32 s3, s3, 0
.LBB4_10:                               ; =>This Inner Loop Header: Depth=1
	v_mov_b32_e32 v1, s3
	ds_read_b32 v1, v1
	s_waitcnt lgkmcnt(1)
	v_max_f32_e32 v2, v5, v5
	s_add_i32 s3, s3, 8
	s_add_i32 s2, s2, -1
	s_cmp_lg_u32 s2, 0
	s_waitcnt lgkmcnt(0)
	v_max_f32_e32 v1, v1, v1
	v_max_f32_e32 v5, v2, v1
	s_cbranch_scc1 .LBB4_10
.LBB4_11:
	s_cmp_lt_i32 s9, 1
	s_cbranch_scc1 .LBB4_16
; %bb.12:
	s_lshl_b32 s2, s4, 8
	s_ashr_i32 s3, s2, 31
	s_lshl_b64 s[2:3], s[2:3], 2
	s_add_u32 s0, s0, s2
	s_addc_u32 s1, s1, s3
	s_cmp_lt_u32 s9, 8
	s_cbranch_scc1 .LBB4_17
; %bb.13:
	s_and_b32 s2, s9, 0x7ffffff8
	v_or_b32_e32 v1, 0x700, v0
	s_mov_b32 s3, 0
	v_mov_b32_e32 v3, 0
	v_mov_b32_e32 v6, 0
	s_mov_b32 s4, 0x3fb8aa3b
	s_mov_b32 s5, 0xc2ce8ed0
	;; [unrolled: 1-line block ×3, first 2 shown]
	v_mov_b32_e32 v8, 0x7f800000
	v_mov_b32_e32 v9, s1
	s_mov_b32 s7, 0
	v_mov_b32_e32 v7, 0
.LBB4_14:                               ; =>This Inner Loop Header: Depth=1
	v_mov_b32_e32 v16, s3
	ds_read2_b64 v[10:13], v16 offset1:1
	s_add_i32 s7, s7, 8
	s_add_i32 s3, s3, 64
	s_cmp_eq_u32 s2, s7
	s_waitcnt lgkmcnt(0)
	v_sub_f32_e32 v2, v10, v5
	v_mul_f32_e32 v10, 0x3fb8aa3b, v2
	v_fma_f32 v14, v2, s4, -v10
	v_rndne_f32_e32 v15, v10
	v_fmac_f32_e32 v14, 0x32a5705f, v2
	v_sub_f32_e32 v10, v10, v15
	v_add_f32_e32 v10, v10, v14
	v_exp_f32_e32 v10, v10
	v_cvt_i32_f32_e32 v14, v15
	v_cmp_ngt_f32_e32 vcc, s5, v2
	v_ldexp_f32 v10, v10, v14
	v_cndmask_b32_e32 v10, 0, v10, vcc
	v_cmp_nlt_f32_e32 vcc, s6, v2
	v_add_u32_e32 v2, 0xfffff900, v1
	v_lshlrev_b64 v[14:15], 2, v[2:3]
	v_cndmask_b32_e32 v10, v8, v10, vcc
	v_add_co_u32_e32 v14, vcc, s0, v14
	v_addc_co_u32_e32 v15, vcc, v9, v15, vcc
	global_load_dword v2, v[14:15], off
	v_fmac_f32_e32 v7, v10, v11
	s_waitcnt vmcnt(0)
	v_fmac_f32_e32 v6, v2, v10
	v_sub_f32_e32 v2, v12, v5
	v_mul_f32_e32 v10, 0x3fb8aa3b, v2
	v_fma_f32 v11, v2, s4, -v10
	v_rndne_f32_e32 v12, v10
	v_fmac_f32_e32 v11, 0x32a5705f, v2
	v_sub_f32_e32 v10, v10, v12
	v_add_f32_e32 v10, v10, v11
	v_exp_f32_e32 v10, v10
	v_cvt_i32_f32_e32 v11, v12
	v_cmp_ngt_f32_e32 vcc, s5, v2
	v_ldexp_f32 v10, v10, v11
	v_cndmask_b32_e32 v10, 0, v10, vcc
	v_cmp_nlt_f32_e32 vcc, s6, v2
	v_add_u32_e32 v2, 0xfffffa00, v1
	v_cndmask_b32_e32 v12, v8, v10, vcc
	v_lshlrev_b64 v[10:11], 2, v[2:3]
	v_fmac_f32_e32 v7, v12, v13
	v_add_co_u32_e32 v10, vcc, s0, v10
	v_addc_co_u32_e32 v11, vcc, v9, v11, vcc
	global_load_dword v2, v[10:11], off
	s_waitcnt vmcnt(0)
	v_fmac_f32_e32 v6, v2, v12
	ds_read2_b64 v[10:13], v16 offset0:2 offset1:3
	s_waitcnt lgkmcnt(0)
	v_sub_f32_e32 v2, v10, v5
	v_mul_f32_e32 v10, 0x3fb8aa3b, v2
	v_fma_f32 v14, v2, s4, -v10
	v_rndne_f32_e32 v15, v10
	v_fmac_f32_e32 v14, 0x32a5705f, v2
	v_sub_f32_e32 v10, v10, v15
	v_add_f32_e32 v10, v10, v14
	v_exp_f32_e32 v10, v10
	v_cvt_i32_f32_e32 v14, v15
	v_cmp_ngt_f32_e32 vcc, s5, v2
	v_ldexp_f32 v10, v10, v14
	v_cndmask_b32_e32 v10, 0, v10, vcc
	v_cmp_nlt_f32_e32 vcc, s6, v2
	v_add_u32_e32 v2, 0xfffffb00, v1
	v_lshlrev_b64 v[14:15], 2, v[2:3]
	v_cndmask_b32_e32 v10, v8, v10, vcc
	v_add_co_u32_e32 v14, vcc, s0, v14
	v_addc_co_u32_e32 v15, vcc, v9, v15, vcc
	global_load_dword v2, v[14:15], off
	v_fmac_f32_e32 v7, v10, v11
	s_waitcnt vmcnt(0)
	v_fmac_f32_e32 v6, v2, v10
	v_sub_f32_e32 v2, v12, v5
	v_mul_f32_e32 v10, 0x3fb8aa3b, v2
	v_fma_f32 v11, v2, s4, -v10
	v_rndne_f32_e32 v12, v10
	v_fmac_f32_e32 v11, 0x32a5705f, v2
	v_sub_f32_e32 v10, v10, v12
	v_add_f32_e32 v10, v10, v11
	v_exp_f32_e32 v10, v10
	v_cvt_i32_f32_e32 v11, v12
	v_cmp_ngt_f32_e32 vcc, s5, v2
	v_ldexp_f32 v10, v10, v11
	v_cndmask_b32_e32 v10, 0, v10, vcc
	v_cmp_nlt_f32_e32 vcc, s6, v2
	v_add_u32_e32 v2, 0xfffffc00, v1
	v_cndmask_b32_e32 v12, v8, v10, vcc
	v_lshlrev_b64 v[10:11], 2, v[2:3]
	v_fmac_f32_e32 v7, v12, v13
	v_add_co_u32_e32 v10, vcc, s0, v10
	v_addc_co_u32_e32 v11, vcc, v9, v11, vcc
	global_load_dword v2, v[10:11], off
	s_waitcnt vmcnt(0)
	v_fmac_f32_e32 v6, v2, v12
	ds_read2_b64 v[10:13], v16 offset0:4 offset1:5
	;; [unrolled: 46-line block ×3, first 2 shown]
	s_waitcnt lgkmcnt(0)
	v_sub_f32_e32 v2, v10, v5
	v_mul_f32_e32 v10, 0x3fb8aa3b, v2
	v_fma_f32 v14, v2, s4, -v10
	v_rndne_f32_e32 v15, v10
	v_fmac_f32_e32 v14, 0x32a5705f, v2
	v_sub_f32_e32 v10, v10, v15
	v_add_f32_e32 v10, v10, v14
	v_exp_f32_e32 v10, v10
	v_cvt_i32_f32_e32 v14, v15
	v_cmp_ngt_f32_e32 vcc, s5, v2
	v_ldexp_f32 v10, v10, v14
	v_cndmask_b32_e32 v10, 0, v10, vcc
	v_cmp_nlt_f32_e32 vcc, s6, v2
	v_add_u32_e32 v2, 0xffffff00, v1
	v_lshlrev_b64 v[14:15], 2, v[2:3]
	v_cndmask_b32_e32 v10, v8, v10, vcc
	v_add_co_u32_e32 v14, vcc, s0, v14
	v_addc_co_u32_e32 v15, vcc, v9, v15, vcc
	global_load_dword v2, v[14:15], off
	v_fmac_f32_e32 v7, v10, v11
	s_waitcnt vmcnt(0)
	v_fmac_f32_e32 v6, v2, v10
	v_sub_f32_e32 v2, v12, v5
	v_mul_f32_e32 v10, 0x3fb8aa3b, v2
	v_fma_f32 v11, v2, s4, -v10
	v_rndne_f32_e32 v12, v10
	v_fmac_f32_e32 v11, 0x32a5705f, v2
	v_sub_f32_e32 v10, v10, v12
	v_add_f32_e32 v10, v10, v11
	v_exp_f32_e32 v10, v10
	v_cvt_i32_f32_e32 v11, v12
	v_cmp_ngt_f32_e32 vcc, s5, v2
	v_ldexp_f32 v10, v10, v11
	v_cndmask_b32_e32 v10, 0, v10, vcc
	v_cmp_nlt_f32_e32 vcc, s6, v2
	v_mov_b32_e32 v2, v3
	v_cndmask_b32_e32 v12, v8, v10, vcc
	v_lshlrev_b64 v[10:11], 2, v[1:2]
	v_fmac_f32_e32 v7, v12, v13
	v_add_co_u32_e32 v10, vcc, s0, v10
	v_addc_co_u32_e32 v11, vcc, v9, v11, vcc
	global_load_dword v2, v[10:11], off
	v_add_u32_e32 v1, 0x800, v1
	s_waitcnt vmcnt(0)
	v_fmac_f32_e32 v6, v2, v12
	s_cbranch_scc0 .LBB4_14
; %bb.15:
	s_and_b32 s3, s9, 7
	s_cmp_eq_u32 s3, 0
	s_cbranch_scc0 .LBB4_18
	s_branch .LBB4_20
.LBB4_16:
	v_mov_b32_e32 v0, 0x7fc00000
	s_branch .LBB4_21
.LBB4_17:
	s_mov_b32 s2, 0
	v_mov_b32_e32 v6, 0
	v_mov_b32_e32 v7, 0
	s_and_b32 s3, s9, 7
	s_cmp_eq_u32 s3, 0
	s_cbranch_scc1 .LBB4_20
.LBB4_18:
	v_lshl_or_b32 v0, s2, 8, v0
	s_lshl_b32 s2, s2, 3
	s_add_i32 s2, s2, 0
	s_mov_b32 s4, 0x3fb8aa3b
	s_mov_b32 s5, 0xc2ce8ed0
	;; [unrolled: 1-line block ×3, first 2 shown]
	v_mov_b32_e32 v2, 0x7f800000
	v_mov_b32_e32 v1, 0
	;; [unrolled: 1-line block ×3, first 2 shown]
.LBB4_19:                               ; =>This Inner Loop Header: Depth=1
	v_lshlrev_b64 v[8:9], 2, v[0:1]
	s_add_i32 s3, s3, -1
	v_add_co_u32_e32 v8, vcc, s0, v8
	v_addc_co_u32_e32 v9, vcc, v3, v9, vcc
	global_load_dword v10, v[8:9], off
	v_mov_b32_e32 v8, s2
	ds_read_b64 v[8:9], v8
	s_add_i32 s2, s2, 8
	v_add_u32_e32 v0, 0x100, v0
	s_cmp_lg_u32 s3, 0
	s_waitcnt lgkmcnt(0)
	v_sub_f32_e32 v8, v8, v5
	v_mul_f32_e32 v11, 0x3fb8aa3b, v8
	v_fma_f32 v12, v8, s4, -v11
	v_rndne_f32_e32 v13, v11
	v_fmac_f32_e32 v12, 0x32a5705f, v8
	v_sub_f32_e32 v11, v11, v13
	v_add_f32_e32 v11, v11, v12
	v_cvt_i32_f32_e32 v13, v13
	v_exp_f32_e32 v11, v11
	v_cmp_ngt_f32_e32 vcc, s5, v8
	v_ldexp_f32 v11, v11, v13
	v_cndmask_b32_e32 v11, 0, v11, vcc
	v_cmp_nlt_f32_e32 vcc, s6, v8
	v_cndmask_b32_e32 v8, v2, v11, vcc
	v_fmac_f32_e32 v7, v8, v9
	s_waitcnt vmcnt(0)
	v_fmac_f32_e32 v6, v10, v8
	s_cbranch_scc1 .LBB4_19
.LBB4_20:
	v_div_scale_f32 v0, s[0:1], v7, v7, v6
	v_div_scale_f32 v1, vcc, v6, v7, v6
	v_rcp_f32_e32 v2, v0
	v_fma_f32 v3, -v0, v2, 1.0
	v_fmac_f32_e32 v2, v3, v2
	v_mul_f32_e32 v3, v1, v2
	s_waitcnt lgkmcnt(0)
	v_fma_f32 v5, -v0, v3, v1
	v_fmac_f32_e32 v3, v5, v2
	v_fma_f32 v0, -v0, v3, v1
	v_div_fmas_f32 v0, v0, v2, v3
	v_div_fixup_f32 v0, v0, v7, v6
.LBB4_21:
	s_lshl_b32 s0, s8, 8
	s_ashr_i32 s1, s0, 31
	s_lshl_b64 s[0:1], s[0:1], 2
	s_add_u32 s0, s10, s0
	s_addc_u32 s1, s11, s1
	global_store_dword v4, v0, s[0:1]
	s_endpgm
	.section	.rodata,"a",@progbits
	.p2align	6, 0x0
	.amdhsa_kernel _ZL26flash_attn_combine_resultsILi256EEvPKfPK15HIP_vector_typeIfLj2EEPfi
		.amdhsa_group_segment_fixed_size 0
		.amdhsa_private_segment_fixed_size 0
		.amdhsa_kernarg_size 288
		.amdhsa_user_sgpr_count 6
		.amdhsa_user_sgpr_private_segment_buffer 1
		.amdhsa_user_sgpr_dispatch_ptr 0
		.amdhsa_user_sgpr_queue_ptr 0
		.amdhsa_user_sgpr_kernarg_segment_ptr 1
		.amdhsa_user_sgpr_dispatch_id 0
		.amdhsa_user_sgpr_flat_scratch_init 0
		.amdhsa_user_sgpr_private_segment_size 0
		.amdhsa_uses_dynamic_stack 0
		.amdhsa_system_sgpr_private_segment_wavefront_offset 0
		.amdhsa_system_sgpr_workgroup_id_x 1
		.amdhsa_system_sgpr_workgroup_id_y 1
		.amdhsa_system_sgpr_workgroup_id_z 1
		.amdhsa_system_sgpr_workgroup_info 0
		.amdhsa_system_vgpr_workitem_id 0
		.amdhsa_next_free_vgpr 17
		.amdhsa_next_free_sgpr 16
		.amdhsa_reserve_vcc 1
		.amdhsa_reserve_flat_scratch 0
		.amdhsa_float_round_mode_32 0
		.amdhsa_float_round_mode_16_64 0
		.amdhsa_float_denorm_mode_32 3
		.amdhsa_float_denorm_mode_16_64 3
		.amdhsa_dx10_clamp 1
		.amdhsa_ieee_mode 1
		.amdhsa_fp16_overflow 0
		.amdhsa_exception_fp_ieee_invalid_op 0
		.amdhsa_exception_fp_denorm_src 0
		.amdhsa_exception_fp_ieee_div_zero 0
		.amdhsa_exception_fp_ieee_overflow 0
		.amdhsa_exception_fp_ieee_underflow 0
		.amdhsa_exception_fp_ieee_inexact 0
		.amdhsa_exception_int_div_zero 0
	.end_amdhsa_kernel
	.section	.text._ZL26flash_attn_combine_resultsILi256EEvPKfPK15HIP_vector_typeIfLj2EEPfi,"axG",@progbits,_ZL26flash_attn_combine_resultsILi256EEvPKfPK15HIP_vector_typeIfLj2EEPfi,comdat
.Lfunc_end4:
	.size	_ZL26flash_attn_combine_resultsILi256EEvPKfPK15HIP_vector_typeIfLj2EEPfi, .Lfunc_end4-_ZL26flash_attn_combine_resultsILi256EEvPKfPK15HIP_vector_typeIfLj2EEPfi
                                        ; -- End function
	.set _ZL26flash_attn_combine_resultsILi256EEvPKfPK15HIP_vector_typeIfLj2EEPfi.num_vgpr, 17
	.set _ZL26flash_attn_combine_resultsILi256EEvPKfPK15HIP_vector_typeIfLj2EEPfi.num_agpr, 0
	.set _ZL26flash_attn_combine_resultsILi256EEvPKfPK15HIP_vector_typeIfLj2EEPfi.numbered_sgpr, 16
	.set _ZL26flash_attn_combine_resultsILi256EEvPKfPK15HIP_vector_typeIfLj2EEPfi.num_named_barrier, 0
	.set _ZL26flash_attn_combine_resultsILi256EEvPKfPK15HIP_vector_typeIfLj2EEPfi.private_seg_size, 0
	.set _ZL26flash_attn_combine_resultsILi256EEvPKfPK15HIP_vector_typeIfLj2EEPfi.uses_vcc, 1
	.set _ZL26flash_attn_combine_resultsILi256EEvPKfPK15HIP_vector_typeIfLj2EEPfi.uses_flat_scratch, 0
	.set _ZL26flash_attn_combine_resultsILi256EEvPKfPK15HIP_vector_typeIfLj2EEPfi.has_dyn_sized_stack, 0
	.set _ZL26flash_attn_combine_resultsILi256EEvPKfPK15HIP_vector_typeIfLj2EEPfi.has_recursion, 0
	.set _ZL26flash_attn_combine_resultsILi256EEvPKfPK15HIP_vector_typeIfLj2EEPfi.has_indirect_call, 0
	.section	.AMDGPU.csdata,"",@progbits
; Kernel info:
; codeLenInByte = 1908
; TotalNumSgprs: 20
; NumVgprs: 17
; ScratchSize: 0
; MemoryBound: 0
; FloatMode: 240
; IeeeMode: 1
; LDSByteSize: 0 bytes/workgroup (compile time only)
; SGPRBlocks: 2
; VGPRBlocks: 4
; NumSGPRsForWavesPerEU: 20
; NumVGPRsForWavesPerEU: 17
; Occupancy: 10
; WaveLimiterHint : 0
; COMPUTE_PGM_RSRC2:SCRATCH_EN: 0
; COMPUTE_PGM_RSRC2:USER_SGPR: 6
; COMPUTE_PGM_RSRC2:TRAP_HANDLER: 0
; COMPUTE_PGM_RSRC2:TGID_X_EN: 1
; COMPUTE_PGM_RSRC2:TGID_Y_EN: 1
; COMPUTE_PGM_RSRC2:TGID_Z_EN: 1
; COMPUTE_PGM_RSRC2:TIDIG_COMP_CNT: 0
	.section	.text._ZL15flash_attn_tileILi320ELi256ELi1ELi32ELb1EEvPKcS1_S1_S1_S1_PKiPfP15HIP_vector_typeIfLj2EEffffjfiS5_IjLj3EEiiiiiiiiiiiliiliiiiil,"axG",@progbits,_ZL15flash_attn_tileILi320ELi256ELi1ELi32ELb1EEvPKcS1_S1_S1_S1_PKiPfP15HIP_vector_typeIfLj2EEffffjfiS5_IjLj3EEiiiiiiiiiiiliiliiiiil,comdat
	.globl	_ZL15flash_attn_tileILi320ELi256ELi1ELi32ELb1EEvPKcS1_S1_S1_S1_PKiPfP15HIP_vector_typeIfLj2EEffffjfiS5_IjLj3EEiiiiiiiiiiiliiliiiiil ; -- Begin function _ZL15flash_attn_tileILi320ELi256ELi1ELi32ELb1EEvPKcS1_S1_S1_S1_PKiPfP15HIP_vector_typeIfLj2EEffffjfiS5_IjLj3EEiiiiiiiiiiiliiliiiiil
	.p2align	8
	.type	_ZL15flash_attn_tileILi320ELi256ELi1ELi32ELb1EEvPKcS1_S1_S1_S1_PKiPfP15HIP_vector_typeIfLj2EEffffjfiS5_IjLj3EEiiiiiiiiiiiliiliiiiil,@function
_ZL15flash_attn_tileILi320ELi256ELi1ELi32ELb1EEvPKcS1_S1_S1_S1_PKiPfP15HIP_vector_typeIfLj2EEffffjfiS5_IjLj3EEiiiiiiiiiiiliiliiiiil: ; @_ZL15flash_attn_tileILi320ELi256ELi1ELi32ELb1EEvPKcS1_S1_S1_S1_PKiPfP15HIP_vector_typeIfLj2EEffffjfiS5_IjLj3EEiiiiiiiiiiiliiliiiiil
; %bb.0:
	s_load_dwordx4 s[0:3], s[4:5], 0x5c
	s_load_dwordx2 s[28:29], s[4:5], 0x80
	s_load_dwordx2 s[34:35], s[4:5], 0xb8
	s_mov_b64 s[30:31], 0
	s_waitcnt lgkmcnt(0)
	s_ashr_i32 s9, s3, 31
	s_lshr_b32 s9, s9, 27
	s_add_i32 s9, s3, s9
	s_ashr_i32 s9, s9, 5
	v_cvt_f32_u32_e32 v2, s9
	s_sub_i32 s10, 0, s9
	v_rcp_iflag_f32_e32 v2, v2
	v_mul_f32_e32 v2, 0x4f7ffffe, v2
	v_cvt_u32_f32_e32 v2, v2
	v_readfirstlane_b32 s11, v2
	s_mul_i32 s10, s10, s11
	s_mul_hi_u32 s10, s11, s10
	s_add_i32 s11, s11, s10
	s_mul_hi_u32 s10, s8, s11
	s_mul_i32 s11, s10, s9
	s_sub_i32 s11, s8, s11
	s_add_i32 s12, s10, 1
	s_sub_i32 s13, s11, s9
	s_cmp_ge_u32 s11, s9
	s_cselect_b32 s10, s12, s10
	s_cselect_b32 s11, s13, s11
	s_add_i32 s12, s10, 1
	s_cmp_ge_u32 s11, s9
	s_cselect_b32 s33, s12, s10
	s_abs_i32 s9, s29
	v_cvt_f32_u32_e32 v2, s9
	s_lshl_b32 s8, s8, 5
	s_mul_i32 s12, s33, s3
	s_xor_b32 s10, s3, s29
	v_rcp_iflag_f32_e32 v2, v2
	s_sub_i32 s13, 0, s9
	s_sub_i32 s29, s8, s12
	s_abs_i32 s11, s3
	v_mul_f32_e32 v2, 0x4f7ffffe, v2
	v_cvt_u32_f32_e32 v2, v2
	s_ashr_i32 s10, s10, 31
	v_readfirstlane_b32 s8, v2
	s_mul_i32 s13, s13, s8
	s_mul_hi_u32 s12, s8, s13
	s_add_i32 s8, s8, s12
	s_mul_hi_u32 s8, s11, s8
	s_mul_i32 s12, s8, s9
	s_sub_i32 s11, s11, s12
	s_add_i32 s13, s8, 1
	s_sub_i32 s12, s11, s9
	s_cmp_ge_u32 s11, s9
	s_cselect_b32 s8, s13, s8
	s_cselect_b32 s11, s12, s11
	s_add_i32 s12, s8, 1
	s_cmp_ge_u32 s11, s9
	s_cselect_b32 s8, s12, s8
	s_xor_b32 s8, s8, s10
	s_sub_i32 s37, s8, s10
	s_abs_i32 s36, s37
	v_cvt_f32_u32_e32 v2, s36
	s_load_dwordx16 s[8:23], s[4:5], 0x0
	v_rcp_iflag_f32_e32 v2, v2
	s_waitcnt lgkmcnt(0)
	s_cmp_eq_u64 s[14:15], 0
	v_mul_f32_e32 v2, 0x4f7ffffe, v2
	v_cvt_u32_f32_e32 v2, v2
	v_readfirstlane_b32 s24, v2
	s_cbranch_scc1 .LBB5_2
; %bb.1:
	s_abs_i32 s25, s34
	v_cvt_f32_u32_e32 v2, s25
	s_sub_i32 s34, 0, s25
	s_abs_i32 s31, s33
	s_ashr_i32 s30, s33, 31
	v_rcp_iflag_f32_e32 v2, v2
	s_load_dwordx2 s[26:27], s[4:5], 0xc8
	v_mul_f32_e32 v2, 0x4f7ffffe, v2
	v_cvt_u32_f32_e32 v2, v2
	v_readfirstlane_b32 s38, v2
	s_mul_i32 s34, s34, s38
	s_mul_hi_u32 s34, s38, s34
	s_add_i32 s38, s38, s34
	s_mul_hi_u32 s34, s31, s38
	s_mul_i32 s34, s34, s25
	s_sub_i32 s31, s31, s34
	s_sub_i32 s34, s31, s25
	s_cmp_ge_u32 s31, s25
	s_cselect_b32 s31, s34, s31
	s_sub_i32 s34, s31, s25
	s_cmp_ge_u32 s31, s25
	s_cselect_b32 s25, s34, s31
	s_xor_b32 s25, s25, s30
	s_sub_i32 s25, s25, s30
	s_ashr_i32 s30, s25, 31
	s_waitcnt lgkmcnt(0)
	s_mul_hi_u32 s31, s26, s25
	s_mul_i32 s30, s26, s30
	s_mul_i32 s27, s27, s25
	s_add_i32 s30, s31, s30
	s_add_i32 s27, s30, s27
	s_mul_i32 s25, s26, s25
	s_add_u32 s30, s14, s25
	s_addc_u32 s31, s15, s27
.LBB5_2:
	v_lshrrev_b32_e32 v2, 4, v1
	s_load_dwordx4 s[40:43], s[4:5], 0x70
	v_add_u32_e32 v15, s6, v2
	v_mul_hi_u32 v2, s0, v15
	v_lshlrev_b32_e32 v8, 4, v0
	v_mul_u32_u24_e32 v18, 0x500, v1
	s_waitcnt lgkmcnt(0)
	s_mul_i32 s0, s33, s42
	v_add_u32_e32 v2, v15, v2
	s_ashr_i32 s15, s0, 31
	v_lshrrev_b32_e32 v2, s1, v2
	s_mul_i32 s14, s29, s41
	s_add_u32 s0, s8, s0
	v_mul_lo_u32 v2, v2, s2
	s_addc_u32 s8, s9, s15
	s_ashr_i32 s9, s14, 31
	s_add_u32 s25, s0, s14
	s_addc_u32 s14, s8, s9
	s_ashr_i32 s9, s41, 31
	s_mov_b32 s8, s41
	s_ashr_i32 s41, s40, 31
	v_sub_u32_e32 v4, v15, v2
	s_lshr_b64 s[0:1], s[40:41], 2
	v_mad_u64_u32 v[2:3], s[0:1], s0, v4, 0
	s_lshr_b32 s0, s41, 2
	v_mad_u64_u32 v[5:6], s[0:1], s0, v4, v[3:4]
	v_lshlrev_b32_e32 v6, 1, v1
	s_lshr_b64 s[0:1], s[8:9], 2
	v_and_b32_e32 v17, 30, v6
	v_mov_b32_e32 v3, v5
	v_mov_b32_e32 v5, s14
	v_mad_u64_u32 v[9:10], s[14:15], s0, v17, 0
	v_lshlrev_b64 v[2:3], 2, v[2:3]
	s_lshr_b32 s8, s9, 2
	v_add_co_u32_e32 v7, vcc, s25, v2
	v_mov_b32_e32 v2, v10
	v_addc_co_u32_e32 v5, vcc, v5, v3, vcc
	v_mad_u64_u32 v[2:3], s[8:9], s8, v17, v[2:3]
	v_add_co_u32_e32 v7, vcc, v7, v8
	v_mov_b32_e32 v10, v2
	v_lshlrev_b64 v[2:3], 2, v[9:10]
	v_addc_co_u32_e32 v8, vcc, 0, v5, vcc
	v_add_co_u32_e32 v2, vcc, v7, v2
	v_addc_co_u32_e32 v3, vcc, v8, v3, vcc
	global_load_dwordx4 v[9:12], v[2:3], off
	global_load_dwordx4 v[19:22], v[2:3], off offset:512
	s_load_dword s14, s[4:5], 0x40
	v_lshlrev_b32_e32 v5, 3, v0
	s_movk_i32 s8, 0x500
	v_mad_u32_u24 v13, v1, s8, v5
	v_cmp_gt_u32_e32 vcc, 16, v0
	s_waitcnt vmcnt(1) lgkmcnt(0)
	v_fma_mixlo_f16 v9, s14, v9, 0
	v_fma_mixlo_f16 v10, s14, v10, 0
	;; [unrolled: 1-line block ×4, first 2 shown]
	s_waitcnt vmcnt(0)
	v_fma_mixlo_f16 v14, s14, v19, 0
	v_fma_mixlo_f16 v16, s14, v20, 0
	;; [unrolled: 1-line block ×4, first 2 shown]
	v_lshlrev_b32_e32 v10, 16, v10
	v_and_b32_e32 v9, 0xffff, v9
	v_lshlrev_b32_e32 v12, 16, v12
	v_and_b32_e32 v11, 0xffff, v11
	;; [unrolled: 2-line block ×4, first 2 shown]
	v_or_b32_e32 v9, v10, v9
	v_or3_b32 v10, v12, v11, 0
	v_or_b32_e32 v11, v16, v14
	v_or3_b32 v12, v20, v19, 0
	v_or3_b32 v9, 0, 0, v9
	;; [unrolled: 1-line block ×3, first 2 shown]
	ds_write2_b64 v13, v[9:10], v[11:12] offset1:32
	s_and_saveexec_b64 s[8:9], vcc
	s_cbranch_execz .LBB5_4
; %bb.3:
	global_load_dwordx4 v[9:12], v[2:3], off offset:1024
	s_waitcnt vmcnt(0)
	v_fma_mixlo_f16 v2, s14, v9, 0
	v_fma_mixlo_f16 v3, s14, v10, 0
	;; [unrolled: 1-line block ×4, first 2 shown]
	v_lshlrev_b32_e32 v3, 16, v3
	v_and_b32_e32 v2, 0xffff, v2
	v_lshlrev_b32_e32 v10, 16, v10
	v_and_b32_e32 v9, 0xffff, v9
	v_or_b32_e32 v2, v3, v2
	v_or3_b32 v3, v10, v9, 0
	v_or3_b32 v2, 0, 0, v2
	v_add_u32_e32 v9, v5, v18
	ds_write_b64 v9, v[2:3] offset:512
.LBB5_4:
	s_or_b64 exec, exec, s[8:9]
	v_or_b32_e32 v6, 1, v6
	v_and_b32_e32 v9, 31, v6
	v_mad_u64_u32 v[2:3], s[8:9], s0, v9, 0
	v_mad_u64_u32 v[9:10], s[0:1], s1, v9, v[3:4]
	v_mov_b32_e32 v3, v9
	v_lshlrev_b64 v[2:3], 2, v[2:3]
	v_add_co_u32_e64 v2, s[0:1], v7, v2
	v_addc_co_u32_e64 v3, s[0:1], v8, v3, s[0:1]
	global_load_dwordx4 v[7:10], v[2:3], off
	global_load_dwordx4 v[11:14], v[2:3], off offset:512
	s_movk_i32 s0, 0x280
	v_mad_u32_u24 v16, v6, s0, v5
	s_waitcnt vmcnt(1)
	v_fma_mixlo_f16 v7, s14, v7, 0
	v_fma_mixlo_f16 v8, s14, v8, 0
	;; [unrolled: 1-line block ×4, first 2 shown]
	s_waitcnt vmcnt(0)
	v_fma_mixlo_f16 v11, s14, v11, 0
	v_fma_mixlo_f16 v12, s14, v12, 0
	;; [unrolled: 1-line block ×4, first 2 shown]
	v_lshlrev_b32_e32 v8, 16, v8
	v_and_b32_e32 v7, 0xffff, v7
	v_lshlrev_b32_e32 v10, 16, v10
	v_and_b32_e32 v9, 0xffff, v9
	;; [unrolled: 2-line block ×4, first 2 shown]
	v_or_b32_e32 v7, v8, v7
	v_or3_b32 v8, v10, v9, 0
	v_or_b32_e32 v9, v12, v11
	v_or3_b32 v10, v14, v13, 0
	v_or3_b32 v7, 0, 0, v7
	;; [unrolled: 1-line block ×3, first 2 shown]
	ds_write2_b64 v16, v[7:8], v[9:10] offset1:32
	s_and_saveexec_b64 s[0:1], vcc
	s_cbranch_execz .LBB5_6
; %bb.5:
	global_load_dwordx4 v[7:10], v[2:3], off offset:1024
	v_mul_u32_u24_e32 v6, 0x280, v6
	v_add_u32_e32 v6, v5, v6
	s_waitcnt vmcnt(0)
	v_fma_mixlo_f16 v2, s14, v7, 0
	v_fma_mixlo_f16 v3, s14, v8, 0
	;; [unrolled: 1-line block ×4, first 2 shown]
	v_lshlrev_b32_e32 v3, 16, v3
	v_and_b32_e32 v2, 0xffff, v2
	v_lshlrev_b32_e32 v8, 16, v8
	v_and_b32_e32 v7, 0xffff, v7
	v_or_b32_e32 v2, v3, v2
	v_or3_b32 v3, v8, v7, 0
	v_or3_b32 v2, 0, 0, v2
	ds_write_b64 v6, v[2:3] offset:512
.LBB5_6:
	s_or_b64 exec, exec, s[0:1]
	s_cmp_eq_u64 s[18:19], 0
	s_waitcnt lgkmcnt(0)
	s_barrier
	s_cbranch_scc1 .LBB5_8
; %bb.7:
	s_load_dword s0, s[4:5], 0xd0
	s_mov_b32 s1, 0
	s_waitcnt lgkmcnt(0)
	s_mul_i32 s0, s0, s33
	s_add_i32 s0, s0, s6
	s_lshl_b64 s[0:1], s[0:1], 2
	s_add_u32 s0, s18, s0
	s_addc_u32 s1, s19, s1
	s_load_dword s28, s[0:1], 0x0
.LBB5_8:
	s_lshl_b32 s6, s7, 7
	v_lshlrev_b32_e32 v16, 2, v0
	s_waitcnt lgkmcnt(0)
	s_cmp_lt_i32 s6, s28
	v_mbcnt_lo_u32_b32 v11, -1, 0
	s_cbranch_scc1 .LBB5_14
; %bb.9:
	v_mbcnt_hi_u32_b32 v19, -1, v11
	v_and_b32_e32 v2, 0x60, v19
	v_add_u32_e32 v13, 32, v2
	v_xor_b32_e32 v51, 16, v19
	v_xor_b32_e32 v14, 8, v19
	;; [unrolled: 1-line block ×5, first 2 shown]
	s_cbranch_execz .LBB5_15
; %bb.10:
	v_mov_b32_e32 v35, 0
	v_mov_b32_e32 v44, 0
	;; [unrolled: 1-line block ×12, first 2 shown]
.LBB5_11:
	v_cmp_lt_i32_e32 vcc, v51, v13
	v_cndmask_b32_e32 v1, v19, v51, vcc
	v_lshlrev_b32_e32 v1, 2, v1
	ds_bpermute_b32 v2, v1, v43
	ds_bpermute_b32 v1, v1, v44
	v_cmp_lt_i32_e32 vcc, v14, v13
	v_cndmask_b32_e32 v3, v19, v14, vcc
	v_lshlrev_b32_e32 v3, 2, v3
	s_waitcnt lgkmcnt(1)
	v_add_f32_e32 v2, v43, v2
	s_waitcnt lgkmcnt(0)
	v_add_f32_e32 v1, v44, v1
	ds_bpermute_b32 v4, v3, v2
	ds_bpermute_b32 v3, v3, v1
	v_cmp_lt_i32_e32 vcc, v47, v13
	v_cndmask_b32_e32 v5, v19, v47, vcc
	v_lshlrev_b32_e32 v5, 2, v5
	s_waitcnt lgkmcnt(1)
	v_add_f32_e32 v2, v2, v4
	s_waitcnt lgkmcnt(0)
	v_add_f32_e32 v1, v1, v3
	;; [unrolled: 9-line block ×4, first 2 shown]
	ds_bpermute_b32 v4, v5, v2
	ds_bpermute_b32 v5, v5, v3
	s_cmp_lg_u64 s[16:17], 0
	s_cselect_b64 s[8:9], -1, 0
	s_cmp_eq_u32 s7, 0
	s_cselect_b64 s[10:11], -1, 0
	s_and_b64 s[8:9], s[10:11], s[8:9]
	s_waitcnt lgkmcnt(1)
	v_add_f32_e32 v1, v2, v4
	s_waitcnt lgkmcnt(0)
	v_add_f32_e32 v2, v3, v5
	s_mov_b64 s[0:1], 0
	s_and_b64 vcc, exec, s[8:9]
	v_add_u32_e32 v5, s29, v17
	s_cbranch_vccnz .LBB5_50
; %bb.12:
	v_mov_b32_e32 v4, v2
	v_add_u32_e32 v6, s29, v17
	v_mov_b32_e32 v3, v1
	s_andn2_b64 vcc, exec, s[0:1]
	s_cbranch_vccz .LBB5_51
; %bb.13:
	v_mov_b32_e32 v5, v6
	s_branch .LBB5_52
.LBB5_14:
                                        ; implicit-def: $vgpr19
                                        ; implicit-def: $vgpr13
                                        ; implicit-def: $vgpr51
                                        ; implicit-def: $vgpr14
                                        ; implicit-def: $vgpr47
                                        ; implicit-def: $vgpr48
                                        ; implicit-def: $vgpr49
.LBB5_15:
	s_sub_i32 s0, 0, s36
	s_mul_i32 s0, s0, s24
	s_mul_hi_u32 s0, s24, s0
	s_abs_i32 s19, s29
	s_add_i32 s24, s24, s0
	s_mul_hi_u32 s34, s19, s24
	s_load_dwordx4 s[24:27], s[4:5], 0x98
	s_load_dword s14, s[4:5], 0x54
	s_load_dwordx2 s[0:1], s[4:5], 0x8c
	s_ashr_i32 s38, s29, 31
	s_ashr_i32 s37, s37, 31
	s_waitcnt lgkmcnt(0)
	s_ashr_i32 s15, s26, 2
	s_ashr_i32 s26, s35, 1
	;; [unrolled: 1-line block ×4, first 2 shown]
	s_mul_hi_u32 s35, s24, s33
	s_mul_i32 s39, s24, s0
	s_add_i32 s35, s35, s39
	s_mul_i32 s25, s25, s33
	s_add_i32 s35, s35, s25
	s_mul_i32 s24, s24, s33
	s_add_u32 s10, s10, s24
	s_mul_i32 s25, s34, s36
	s_addc_u32 s11, s11, s35
	s_sub_i32 s19, s19, s25
	s_xor_b32 s24, s38, s37
	s_add_i32 s25, s34, 1
	s_sub_i32 s35, s19, s36
	s_cmp_ge_u32 s19, s36
	s_cselect_b32 s25, s25, s34
	s_cselect_b32 s19, s35, s19
	s_add_i32 s34, s25, 1
	s_cmp_ge_u32 s19, s36
	s_load_dwordx2 s[8:9], s[4:5], 0xa8
	s_cselect_b32 s19, s34, s25
	s_xor_b32 s19, s19, s24
	s_sub_i32 s19, s19, s24
	s_mul_i32 s1, s19, s1
	s_ashr_i32 s24, s1, 31
	s_add_u32 s10, s10, s1
	s_waitcnt lgkmcnt(0)
	s_mul_hi_u32 s1, s8, s33
	s_mul_i32 s0, s8, s0
	s_addc_u32 s11, s11, s24
	s_add_i32 s0, s1, s0
	s_mul_i32 s1, s9, s33
	s_add_i32 s0, s0, s1
	s_mul_i32 s1, s8, s33
	s_add_u32 s1, s12, s1
	s_mul_i32 s19, s19, s27
	s_addc_u32 s0, s13, s0
	s_ashr_i32 s8, s19, 31
	v_lshrrev_b32_e32 v2, 3, v0
	s_add_u32 s12, s1, s19
	v_lshl_add_u32 v2, v1, 2, v2
	v_and_b32_e32 v10, 28, v16
	s_addc_u32 s13, s0, s8
	v_lshlrev_b32_e32 v3, 2, v10
	v_mul_lo_u32 v6, s18, v2
	s_movk_i32 s0, 0x90
	v_mul_lo_u32 v12, s15, v1
	v_mad_u32_u24 v2, v2, s0, v3
	v_add_u32_e32 v20, 0x5000, v2
	v_add_u32_e32 v21, 0x7400, v2
	v_mov_b32_e32 v2, 0x5000
	v_mad_u32_u24 v22, v0, s0, v2
	v_mad_u64_u32 v[2:3], s[0:1], v4, s26, v[0:1]
	v_lshl_add_u32 v8, s18, 6, v6
	v_lshlrev_b32_e32 v3, 9, v1
	v_lshl_add_u32 v32, s15, 4, v12
	v_ashrrev_i32_e32 v7, 31, v6
	v_ashrrev_i32_e32 v9, 31, v8
	v_add_u32_e32 v1, 0x9800, v3
	v_lshl_add_u32 v3, v16, 2, v3
	v_ashrrev_i32_e32 v13, 31, v12
	v_ashrrev_i32_e32 v33, 31, v32
	v_add_u32_e32 v23, 0x5000, v3
	v_add_u32_e32 v24, 0x7000, v3
	v_or_b32_e32 v25, 0x5000, v5
	s_add_u32 s0, s4, 0xd0
	v_lshlrev_b64 v[3:4], 2, v[6:7]
	v_lshlrev_b32_e32 v26, 2, v10
	v_lshlrev_b64 v[5:6], 2, v[8:9]
	v_lshlrev_b64 v[7:8], 2, v[12:13]
	;; [unrolled: 1-line block ×3, first 2 shown]
	v_mov_b32_e32 v31, 0
	s_addc_u32 s1, s5, 0
	v_mov_b32_e32 v42, 0xfeffffff
	s_mov_b32 s19, 0x3f200000
	s_mov_b32 s24, 0x3fb8aa3b
	;; [unrolled: 1-line block ×4, first 2 shown]
	v_mov_b32_e32 v27, 0xbd5c1c4e
	v_mov_b32_e32 v28, 0x3e088382
	;; [unrolled: 1-line block ×3, first 2 shown]
	s_brev_b32 s27, -2
	s_mov_b32 s34, 0x10001
	v_mov_b32_e32 v30, 0x7f800000
	v_mbcnt_hi_u32_b32 v19, -1, v11
	v_mov_b32_e32 v33, 0
	v_mov_b32_e32 v34, 0
	;; [unrolled: 1-line block ×10, first 2 shown]
.LBB5_16:                               ; =>This Inner Loop Header: Depth=1
	s_mul_hi_i32 s9, s6, s18
	s_mul_i32 s8, s6, s18
	s_lshl_b64 s[8:9], s[8:9], 2
	s_add_u32 s8, s10, s8
	s_addc_u32 s9, s11, s9
	v_mov_b32_e32 v11, s9
	v_add_co_u32_e32 v12, vcc, s8, v3
	v_addc_co_u32_e32 v13, vcc, v11, v4, vcc
	v_add_co_u32_e32 v11, vcc, v12, v26
	v_addc_co_u32_e32 v12, vcc, 0, v13, vcc
	v_mov_b32_e32 v13, s9
	v_add_co_u32_e32 v14, vcc, s8, v5
	v_addc_co_u32_e32 v43, vcc, v13, v6, vcc
	v_add_co_u32_e32 v13, vcc, v14, v26
	v_addc_co_u32_e32 v14, vcc, 0, v43, vcc
	global_load_dwordx4 v[51:54], v[11:12], off
	global_load_dwordx4 v[55:58], v[13:14], off
	v_mov_b32_e32 v47, 0
	v_mov_b32_e32 v43, 0
	;; [unrolled: 1-line block ×8, first 2 shown]
	s_waitcnt vmcnt(1)
	ds_write_b128 v20, v[51:54]
	s_waitcnt vmcnt(0)
	ds_write_b128 v21, v[55:58]
	s_waitcnt lgkmcnt(0)
	s_barrier
	ds_read_b128 v[51:54], v18
	ds_read_b128 v[55:58], v22
	ds_read_b128 v[59:62], v22 offset:4608
	ds_read_b128 v[63:66], v22 offset:9216
	;; [unrolled: 1-line block ×4, first 2 shown]
	s_waitcnt lgkmcnt(4)
	;;#ASMSTART
	v_dot2_f32_f16 v47, v55, v51, v47
	;;#ASMEND
	;;#ASMSTART
	v_dot2_f32_f16 v47, v56, v52, v47
	;;#ASMEND
	;; [unrolled: 3-line block ×4, first 2 shown]
	s_waitcnt lgkmcnt(0)
	;;#ASMSTART
	v_dot2_f32_f16 v43, v55, v71, v43
	;;#ASMEND
	;;#ASMSTART
	v_dot2_f32_f16 v43, v56, v72, v43
	;;#ASMEND
	;; [unrolled: 3-line block ×28, first 2 shown]
	ds_read_b128 v[51:54], v18 offset:16
	ds_read_b128 v[55:58], v22 offset:16
	;; [unrolled: 1-line block ×6, first 2 shown]
	s_waitcnt lgkmcnt(4)
	;;#ASMSTART
	v_dot2_f32_f16 v47, v55, v51, v47
	;;#ASMEND
	;;#ASMSTART
	v_dot2_f32_f16 v47, v56, v52, v47
	;;#ASMEND
	;; [unrolled: 3-line block ×4, first 2 shown]
	s_waitcnt lgkmcnt(0)
	;;#ASMSTART
	v_dot2_f32_f16 v43, v55, v71, v43
	;;#ASMEND
	;;#ASMSTART
	v_dot2_f32_f16 v43, v56, v72, v43
	;;#ASMEND
	;;#ASMSTART
	v_dot2_f32_f16 v43, v57, v73, v43
	;;#ASMEND
	;;#ASMSTART
	v_dot2_f32_f16 v43, v58, v74, v43
	;;#ASMEND
	;;#ASMSTART
	v_dot2_f32_f16 v48, v59, v51, v48
	;;#ASMEND
	;;#ASMSTART
	v_dot2_f32_f16 v48, v60, v52, v48
	;;#ASMEND
	;;#ASMSTART
	v_dot2_f32_f16 v48, v61, v53, v48
	;;#ASMEND
	;;#ASMSTART
	v_dot2_f32_f16 v48, v62, v54, v48
	;;#ASMEND
	;;#ASMSTART
	v_dot2_f32_f16 v44, v59, v71, v44
	;;#ASMEND
	;;#ASMSTART
	v_dot2_f32_f16 v44, v60, v72, v44
	;;#ASMEND
	;;#ASMSTART
	v_dot2_f32_f16 v44, v61, v73, v44
	;;#ASMEND
	;;#ASMSTART
	v_dot2_f32_f16 v44, v62, v74, v44
	;;#ASMEND
	;;#ASMSTART
	v_dot2_f32_f16 v49, v63, v51, v49
	;;#ASMEND
	;;#ASMSTART
	v_dot2_f32_f16 v49, v64, v52, v49
	;;#ASMEND
	;;#ASMSTART
	v_dot2_f32_f16 v49, v65, v53, v49
	;;#ASMEND
	;;#ASMSTART
	v_dot2_f32_f16 v49, v66, v54, v49
	;;#ASMEND
	;;#ASMSTART
	v_dot2_f32_f16 v45, v63, v71, v45
	;;#ASMEND
	;;#ASMSTART
	v_dot2_f32_f16 v45, v64, v72, v45
	;;#ASMEND
	;;#ASMSTART
	v_dot2_f32_f16 v45, v65, v73, v45
	;;#ASMEND
	;;#ASMSTART
	v_dot2_f32_f16 v45, v66, v74, v45
	;;#ASMEND
	;;#ASMSTART
	v_dot2_f32_f16 v50, v67, v51, v50
	;;#ASMEND
	;;#ASMSTART
	v_dot2_f32_f16 v50, v68, v52, v50
	;;#ASMEND
	;;#ASMSTART
	v_dot2_f32_f16 v50, v69, v53, v50
	;;#ASMEND
	;;#ASMSTART
	v_dot2_f32_f16 v50, v70, v54, v50
	;;#ASMEND
	;;#ASMSTART
	v_dot2_f32_f16 v46, v67, v71, v46
	;;#ASMEND
	;;#ASMSTART
	v_dot2_f32_f16 v46, v68, v72, v46
	;;#ASMEND
	;;#ASMSTART
	v_dot2_f32_f16 v46, v69, v73, v46
	;;#ASMEND
	;;#ASMSTART
	v_dot2_f32_f16 v46, v70, v74, v46
	;;#ASMEND
	ds_read_b128 v[51:54], v18 offset:32
	ds_read_b128 v[55:58], v22 offset:32
	;; [unrolled: 1-line block ×6, first 2 shown]
	s_waitcnt lgkmcnt(4)
	;;#ASMSTART
	v_dot2_f32_f16 v47, v55, v51, v47
	;;#ASMEND
	;;#ASMSTART
	v_dot2_f32_f16 v47, v56, v52, v47
	;;#ASMEND
	;; [unrolled: 3-line block ×4, first 2 shown]
	s_waitcnt lgkmcnt(0)
	;;#ASMSTART
	v_dot2_f32_f16 v43, v55, v71, v43
	;;#ASMEND
	;;#ASMSTART
	v_dot2_f32_f16 v43, v56, v72, v43
	;;#ASMEND
	;; [unrolled: 3-line block ×28, first 2 shown]
	ds_read_b128 v[51:54], v18 offset:48
	ds_read_b128 v[55:58], v22 offset:48
	;; [unrolled: 1-line block ×6, first 2 shown]
	s_waitcnt lgkmcnt(4)
	;;#ASMSTART
	v_dot2_f32_f16 v47, v55, v51, v47
	;;#ASMEND
	;;#ASMSTART
	v_dot2_f32_f16 v47, v56, v52, v47
	;;#ASMEND
	;; [unrolled: 3-line block ×4, first 2 shown]
	s_waitcnt lgkmcnt(0)
	;;#ASMSTART
	v_dot2_f32_f16 v43, v55, v71, v43
	;;#ASMEND
	;;#ASMSTART
	v_dot2_f32_f16 v43, v56, v72, v43
	;;#ASMEND
	;; [unrolled: 3-line block ×28, first 2 shown]
	ds_read_b128 v[51:54], v18 offset:64
	ds_read_b128 v[55:58], v22 offset:64
	;; [unrolled: 1-line block ×6, first 2 shown]
	s_waitcnt lgkmcnt(4)
	;;#ASMSTART
	v_dot2_f32_f16 v47, v55, v51, v47
	;;#ASMEND
	;;#ASMSTART
	v_dot2_f32_f16 v47, v56, v52, v47
	;;#ASMEND
	;; [unrolled: 3-line block ×4, first 2 shown]
	s_waitcnt lgkmcnt(0)
	;;#ASMSTART
	v_dot2_f32_f16 v43, v55, v71, v43
	;;#ASMEND
	;;#ASMSTART
	v_dot2_f32_f16 v43, v56, v72, v43
	;;#ASMEND
	;; [unrolled: 3-line block ×28, first 2 shown]
	ds_read_b128 v[51:54], v18 offset:80
	ds_read_b128 v[55:58], v22 offset:80
	;; [unrolled: 1-line block ×6, first 2 shown]
	s_waitcnt lgkmcnt(4)
	;;#ASMSTART
	v_dot2_f32_f16 v47, v55, v51, v47
	;;#ASMEND
	;;#ASMSTART
	v_dot2_f32_f16 v47, v56, v52, v47
	;;#ASMEND
	;; [unrolled: 3-line block ×4, first 2 shown]
	s_waitcnt lgkmcnt(0)
	;;#ASMSTART
	v_dot2_f32_f16 v43, v55, v71, v43
	;;#ASMEND
	;;#ASMSTART
	v_dot2_f32_f16 v43, v56, v72, v43
	;;#ASMEND
	;; [unrolled: 3-line block ×28, first 2 shown]
	ds_read_b128 v[51:54], v18 offset:96
	ds_read_b128 v[55:58], v22 offset:96
	;; [unrolled: 1-line block ×6, first 2 shown]
	s_waitcnt lgkmcnt(4)
	;;#ASMSTART
	v_dot2_f32_f16 v47, v55, v51, v47
	;;#ASMEND
	;;#ASMSTART
	v_dot2_f32_f16 v47, v56, v52, v47
	;;#ASMEND
	;; [unrolled: 3-line block ×4, first 2 shown]
	s_waitcnt lgkmcnt(0)
	;;#ASMSTART
	v_dot2_f32_f16 v43, v55, v71, v43
	;;#ASMEND
	;;#ASMSTART
	v_dot2_f32_f16 v43, v56, v72, v43
	;;#ASMEND
	;; [unrolled: 3-line block ×28, first 2 shown]
	ds_read_b128 v[51:54], v18 offset:112
	ds_read_b128 v[55:58], v22 offset:112
	;; [unrolled: 1-line block ×6, first 2 shown]
	s_waitcnt lgkmcnt(4)
	;;#ASMSTART
	v_dot2_f32_f16 v47, v55, v51, v47
	;;#ASMEND
	;;#ASMSTART
	v_dot2_f32_f16 v47, v56, v52, v47
	;;#ASMEND
	;; [unrolled: 3-line block ×4, first 2 shown]
	s_waitcnt lgkmcnt(0)
	;;#ASMSTART
	v_dot2_f32_f16 v43, v55, v71, v43
	;;#ASMEND
	;;#ASMSTART
	v_dot2_f32_f16 v43, v56, v72, v43
	;;#ASMEND
	;; [unrolled: 3-line block ×28, first 2 shown]
	s_barrier
	global_load_dwordx4 v[51:54], v[11:12], off offset:128
	global_load_dwordx4 v[55:58], v[13:14], off offset:128
	s_waitcnt vmcnt(1)
	ds_write_b128 v20, v[51:54]
	s_waitcnt vmcnt(0)
	ds_write_b128 v21, v[55:58]
	s_waitcnt lgkmcnt(0)
	s_barrier
	ds_read_b128 v[51:54], v18 offset:128
	ds_read_b128 v[55:58], v22
	ds_read_b128 v[59:62], v22 offset:4608
	ds_read_b128 v[63:66], v22 offset:9216
	;; [unrolled: 1-line block ×4, first 2 shown]
	s_waitcnt lgkmcnt(4)
	;;#ASMSTART
	v_dot2_f32_f16 v47, v55, v51, v47
	;;#ASMEND
	;;#ASMSTART
	v_dot2_f32_f16 v47, v56, v52, v47
	;;#ASMEND
	;; [unrolled: 3-line block ×4, first 2 shown]
	s_waitcnt lgkmcnt(0)
	;;#ASMSTART
	v_dot2_f32_f16 v43, v55, v71, v43
	;;#ASMEND
	;;#ASMSTART
	v_dot2_f32_f16 v43, v56, v72, v43
	;;#ASMEND
	;; [unrolled: 3-line block ×28, first 2 shown]
	ds_read_b128 v[51:54], v18 offset:144
	ds_read_b128 v[55:58], v22 offset:16
	;; [unrolled: 1-line block ×6, first 2 shown]
	s_waitcnt lgkmcnt(4)
	;;#ASMSTART
	v_dot2_f32_f16 v47, v55, v51, v47
	;;#ASMEND
	;;#ASMSTART
	v_dot2_f32_f16 v47, v56, v52, v47
	;;#ASMEND
	;; [unrolled: 3-line block ×4, first 2 shown]
	s_waitcnt lgkmcnt(0)
	;;#ASMSTART
	v_dot2_f32_f16 v43, v55, v71, v43
	;;#ASMEND
	;;#ASMSTART
	v_dot2_f32_f16 v43, v56, v72, v43
	;;#ASMEND
	;; [unrolled: 3-line block ×28, first 2 shown]
	ds_read_b128 v[51:54], v18 offset:160
	ds_read_b128 v[55:58], v22 offset:32
	;; [unrolled: 1-line block ×6, first 2 shown]
	s_waitcnt lgkmcnt(4)
	;;#ASMSTART
	v_dot2_f32_f16 v47, v55, v51, v47
	;;#ASMEND
	;;#ASMSTART
	v_dot2_f32_f16 v47, v56, v52, v47
	;;#ASMEND
	;;#ASMSTART
	v_dot2_f32_f16 v47, v57, v53, v47
	;;#ASMEND
	;;#ASMSTART
	v_dot2_f32_f16 v47, v58, v54, v47
	;;#ASMEND
	s_waitcnt lgkmcnt(0)
	;;#ASMSTART
	v_dot2_f32_f16 v43, v55, v71, v43
	;;#ASMEND
	;;#ASMSTART
	v_dot2_f32_f16 v43, v56, v72, v43
	;;#ASMEND
	;; [unrolled: 3-line block ×28, first 2 shown]
	ds_read_b128 v[51:54], v18 offset:176
	ds_read_b128 v[55:58], v22 offset:48
	;; [unrolled: 1-line block ×6, first 2 shown]
	s_waitcnt lgkmcnt(4)
	;;#ASMSTART
	v_dot2_f32_f16 v47, v55, v51, v47
	;;#ASMEND
	;;#ASMSTART
	v_dot2_f32_f16 v47, v56, v52, v47
	;;#ASMEND
	;; [unrolled: 3-line block ×4, first 2 shown]
	s_waitcnt lgkmcnt(0)
	;;#ASMSTART
	v_dot2_f32_f16 v43, v55, v71, v43
	;;#ASMEND
	;;#ASMSTART
	v_dot2_f32_f16 v43, v56, v72, v43
	;;#ASMEND
	;; [unrolled: 3-line block ×28, first 2 shown]
	ds_read_b128 v[51:54], v18 offset:192
	ds_read_b128 v[55:58], v22 offset:64
	;; [unrolled: 1-line block ×6, first 2 shown]
	s_waitcnt lgkmcnt(4)
	;;#ASMSTART
	v_dot2_f32_f16 v47, v55, v51, v47
	;;#ASMEND
	;;#ASMSTART
	v_dot2_f32_f16 v47, v56, v52, v47
	;;#ASMEND
	;; [unrolled: 3-line block ×4, first 2 shown]
	s_waitcnt lgkmcnt(0)
	;;#ASMSTART
	v_dot2_f32_f16 v43, v55, v71, v43
	;;#ASMEND
	;;#ASMSTART
	v_dot2_f32_f16 v43, v56, v72, v43
	;;#ASMEND
	;; [unrolled: 3-line block ×28, first 2 shown]
	ds_read_b128 v[51:54], v18 offset:208
	ds_read_b128 v[55:58], v22 offset:80
	;; [unrolled: 1-line block ×6, first 2 shown]
	s_waitcnt lgkmcnt(4)
	;;#ASMSTART
	v_dot2_f32_f16 v47, v55, v51, v47
	;;#ASMEND
	;;#ASMSTART
	v_dot2_f32_f16 v47, v56, v52, v47
	;;#ASMEND
	;;#ASMSTART
	v_dot2_f32_f16 v47, v57, v53, v47
	;;#ASMEND
	;;#ASMSTART
	v_dot2_f32_f16 v47, v58, v54, v47
	;;#ASMEND
	s_waitcnt lgkmcnt(0)
	;;#ASMSTART
	v_dot2_f32_f16 v43, v55, v71, v43
	;;#ASMEND
	;;#ASMSTART
	v_dot2_f32_f16 v43, v56, v72, v43
	;;#ASMEND
	;;#ASMSTART
	v_dot2_f32_f16 v43, v57, v73, v43
	;;#ASMEND
	;;#ASMSTART
	v_dot2_f32_f16 v43, v58, v74, v43
	;;#ASMEND
	;;#ASMSTART
	v_dot2_f32_f16 v48, v59, v51, v48
	;;#ASMEND
	;;#ASMSTART
	v_dot2_f32_f16 v48, v60, v52, v48
	;;#ASMEND
	;;#ASMSTART
	v_dot2_f32_f16 v48, v61, v53, v48
	;;#ASMEND
	;;#ASMSTART
	v_dot2_f32_f16 v48, v62, v54, v48
	;;#ASMEND
	;;#ASMSTART
	v_dot2_f32_f16 v44, v59, v71, v44
	;;#ASMEND
	;;#ASMSTART
	v_dot2_f32_f16 v44, v60, v72, v44
	;;#ASMEND
	;;#ASMSTART
	v_dot2_f32_f16 v44, v61, v73, v44
	;;#ASMEND
	;;#ASMSTART
	v_dot2_f32_f16 v44, v62, v74, v44
	;;#ASMEND
	;;#ASMSTART
	v_dot2_f32_f16 v49, v63, v51, v49
	;;#ASMEND
	;;#ASMSTART
	v_dot2_f32_f16 v49, v64, v52, v49
	;;#ASMEND
	;;#ASMSTART
	v_dot2_f32_f16 v49, v65, v53, v49
	;;#ASMEND
	;;#ASMSTART
	v_dot2_f32_f16 v49, v66, v54, v49
	;;#ASMEND
	;;#ASMSTART
	v_dot2_f32_f16 v45, v63, v71, v45
	;;#ASMEND
	;;#ASMSTART
	v_dot2_f32_f16 v45, v64, v72, v45
	;;#ASMEND
	;;#ASMSTART
	v_dot2_f32_f16 v45, v65, v73, v45
	;;#ASMEND
	;;#ASMSTART
	v_dot2_f32_f16 v45, v66, v74, v45
	;;#ASMEND
	;;#ASMSTART
	v_dot2_f32_f16 v50, v67, v51, v50
	;;#ASMEND
	;;#ASMSTART
	v_dot2_f32_f16 v50, v68, v52, v50
	;;#ASMEND
	;;#ASMSTART
	v_dot2_f32_f16 v50, v69, v53, v50
	;;#ASMEND
	;;#ASMSTART
	v_dot2_f32_f16 v50, v70, v54, v50
	;;#ASMEND
	;;#ASMSTART
	v_dot2_f32_f16 v46, v67, v71, v46
	;;#ASMEND
	;;#ASMSTART
	v_dot2_f32_f16 v46, v68, v72, v46
	;;#ASMEND
	;;#ASMSTART
	v_dot2_f32_f16 v46, v69, v73, v46
	;;#ASMEND
	;;#ASMSTART
	v_dot2_f32_f16 v46, v70, v74, v46
	;;#ASMEND
	ds_read_b128 v[51:54], v18 offset:224
	ds_read_b128 v[55:58], v22 offset:96
	;; [unrolled: 1-line block ×6, first 2 shown]
	s_waitcnt lgkmcnt(4)
	;;#ASMSTART
	v_dot2_f32_f16 v47, v55, v51, v47
	;;#ASMEND
	;;#ASMSTART
	v_dot2_f32_f16 v47, v56, v52, v47
	;;#ASMEND
	;; [unrolled: 3-line block ×4, first 2 shown]
	s_waitcnt lgkmcnt(0)
	;;#ASMSTART
	v_dot2_f32_f16 v43, v55, v71, v43
	;;#ASMEND
	;;#ASMSTART
	v_dot2_f32_f16 v43, v56, v72, v43
	;;#ASMEND
	;;#ASMSTART
	v_dot2_f32_f16 v43, v57, v73, v43
	;;#ASMEND
	;;#ASMSTART
	v_dot2_f32_f16 v43, v58, v74, v43
	;;#ASMEND
	;;#ASMSTART
	v_dot2_f32_f16 v48, v59, v51, v48
	;;#ASMEND
	;;#ASMSTART
	v_dot2_f32_f16 v48, v60, v52, v48
	;;#ASMEND
	;;#ASMSTART
	v_dot2_f32_f16 v48, v61, v53, v48
	;;#ASMEND
	;;#ASMSTART
	v_dot2_f32_f16 v48, v62, v54, v48
	;;#ASMEND
	;;#ASMSTART
	v_dot2_f32_f16 v44, v59, v71, v44
	;;#ASMEND
	;;#ASMSTART
	v_dot2_f32_f16 v44, v60, v72, v44
	;;#ASMEND
	;;#ASMSTART
	v_dot2_f32_f16 v44, v61, v73, v44
	;;#ASMEND
	;;#ASMSTART
	v_dot2_f32_f16 v44, v62, v74, v44
	;;#ASMEND
	;;#ASMSTART
	v_dot2_f32_f16 v49, v63, v51, v49
	;;#ASMEND
	;;#ASMSTART
	v_dot2_f32_f16 v49, v64, v52, v49
	;;#ASMEND
	;;#ASMSTART
	v_dot2_f32_f16 v49, v65, v53, v49
	;;#ASMEND
	;;#ASMSTART
	v_dot2_f32_f16 v49, v66, v54, v49
	;;#ASMEND
	;;#ASMSTART
	v_dot2_f32_f16 v45, v63, v71, v45
	;;#ASMEND
	;;#ASMSTART
	v_dot2_f32_f16 v45, v64, v72, v45
	;;#ASMEND
	;;#ASMSTART
	v_dot2_f32_f16 v45, v65, v73, v45
	;;#ASMEND
	;;#ASMSTART
	v_dot2_f32_f16 v45, v66, v74, v45
	;;#ASMEND
	;;#ASMSTART
	v_dot2_f32_f16 v50, v67, v51, v50
	;;#ASMEND
	;;#ASMSTART
	v_dot2_f32_f16 v50, v68, v52, v50
	;;#ASMEND
	;;#ASMSTART
	v_dot2_f32_f16 v50, v69, v53, v50
	;;#ASMEND
	;;#ASMSTART
	v_dot2_f32_f16 v50, v70, v54, v50
	;;#ASMEND
	;;#ASMSTART
	v_dot2_f32_f16 v46, v67, v71, v46
	;;#ASMEND
	;;#ASMSTART
	v_dot2_f32_f16 v46, v68, v72, v46
	;;#ASMEND
	;;#ASMSTART
	v_dot2_f32_f16 v46, v69, v73, v46
	;;#ASMEND
	;;#ASMSTART
	v_dot2_f32_f16 v46, v70, v74, v46
	;;#ASMEND
	ds_read_b128 v[51:54], v18 offset:240
	ds_read_b128 v[55:58], v22 offset:112
	;; [unrolled: 1-line block ×6, first 2 shown]
	s_waitcnt lgkmcnt(4)
	;;#ASMSTART
	v_dot2_f32_f16 v47, v55, v51, v47
	;;#ASMEND
	;;#ASMSTART
	v_dot2_f32_f16 v47, v56, v52, v47
	;;#ASMEND
	;; [unrolled: 3-line block ×4, first 2 shown]
	s_waitcnt lgkmcnt(0)
	;;#ASMSTART
	v_dot2_f32_f16 v43, v55, v71, v43
	;;#ASMEND
	;;#ASMSTART
	v_dot2_f32_f16 v43, v56, v72, v43
	;;#ASMEND
	;; [unrolled: 3-line block ×28, first 2 shown]
	s_barrier
	global_load_dwordx4 v[51:54], v[11:12], off offset:256
	global_load_dwordx4 v[55:58], v[13:14], off offset:256
	s_waitcnt vmcnt(1)
	ds_write_b128 v20, v[51:54]
	s_waitcnt vmcnt(0)
	ds_write_b128 v21, v[55:58]
	s_waitcnt lgkmcnt(0)
	s_barrier
	ds_read_b128 v[51:54], v18 offset:256
	ds_read_b128 v[55:58], v22
	ds_read_b128 v[59:62], v22 offset:4608
	ds_read_b128 v[63:66], v22 offset:9216
	ds_read_b128 v[67:70], v22 offset:13824
	ds_read_b128 v[71:74], v18 offset:896
	s_waitcnt lgkmcnt(4)
	;;#ASMSTART
	v_dot2_f32_f16 v47, v55, v51, v47
	;;#ASMEND
	;;#ASMSTART
	v_dot2_f32_f16 v47, v56, v52, v47
	;;#ASMEND
	;; [unrolled: 3-line block ×4, first 2 shown]
	s_waitcnt lgkmcnt(0)
	;;#ASMSTART
	v_dot2_f32_f16 v43, v55, v71, v43
	;;#ASMEND
	;;#ASMSTART
	v_dot2_f32_f16 v43, v56, v72, v43
	;;#ASMEND
	;; [unrolled: 3-line block ×28, first 2 shown]
	ds_read_b128 v[51:54], v18 offset:272
	ds_read_b128 v[55:58], v22 offset:16
	;; [unrolled: 1-line block ×6, first 2 shown]
	s_waitcnt lgkmcnt(4)
	;;#ASMSTART
	v_dot2_f32_f16 v47, v55, v51, v47
	;;#ASMEND
	;;#ASMSTART
	v_dot2_f32_f16 v47, v56, v52, v47
	;;#ASMEND
	;; [unrolled: 3-line block ×4, first 2 shown]
	s_waitcnt lgkmcnt(0)
	;;#ASMSTART
	v_dot2_f32_f16 v43, v55, v71, v43
	;;#ASMEND
	;;#ASMSTART
	v_dot2_f32_f16 v43, v56, v72, v43
	;;#ASMEND
	;; [unrolled: 3-line block ×28, first 2 shown]
	ds_read_b128 v[51:54], v18 offset:288
	ds_read_b128 v[55:58], v22 offset:32
	;; [unrolled: 1-line block ×6, first 2 shown]
	s_waitcnt lgkmcnt(4)
	;;#ASMSTART
	v_dot2_f32_f16 v47, v55, v51, v47
	;;#ASMEND
	;;#ASMSTART
	v_dot2_f32_f16 v47, v56, v52, v47
	;;#ASMEND
	;; [unrolled: 3-line block ×4, first 2 shown]
	s_waitcnt lgkmcnt(0)
	;;#ASMSTART
	v_dot2_f32_f16 v43, v55, v71, v43
	;;#ASMEND
	;;#ASMSTART
	v_dot2_f32_f16 v43, v56, v72, v43
	;;#ASMEND
	;; [unrolled: 3-line block ×28, first 2 shown]
	ds_read_b128 v[51:54], v18 offset:304
	ds_read_b128 v[55:58], v22 offset:48
	;; [unrolled: 1-line block ×6, first 2 shown]
	s_waitcnt lgkmcnt(4)
	;;#ASMSTART
	v_dot2_f32_f16 v47, v55, v51, v47
	;;#ASMEND
	;;#ASMSTART
	v_dot2_f32_f16 v47, v56, v52, v47
	;;#ASMEND
	;; [unrolled: 3-line block ×4, first 2 shown]
	s_waitcnt lgkmcnt(0)
	;;#ASMSTART
	v_dot2_f32_f16 v43, v55, v71, v43
	;;#ASMEND
	;;#ASMSTART
	v_dot2_f32_f16 v43, v56, v72, v43
	;;#ASMEND
	;; [unrolled: 3-line block ×28, first 2 shown]
	ds_read_b128 v[51:54], v18 offset:320
	ds_read_b128 v[55:58], v22 offset:64
	;; [unrolled: 1-line block ×6, first 2 shown]
	s_waitcnt lgkmcnt(4)
	;;#ASMSTART
	v_dot2_f32_f16 v47, v55, v51, v47
	;;#ASMEND
	;;#ASMSTART
	v_dot2_f32_f16 v47, v56, v52, v47
	;;#ASMEND
	;; [unrolled: 3-line block ×4, first 2 shown]
	s_waitcnt lgkmcnt(0)
	;;#ASMSTART
	v_dot2_f32_f16 v43, v55, v71, v43
	;;#ASMEND
	;;#ASMSTART
	v_dot2_f32_f16 v43, v56, v72, v43
	;;#ASMEND
	;; [unrolled: 3-line block ×28, first 2 shown]
	ds_read_b128 v[51:54], v18 offset:336
	ds_read_b128 v[55:58], v22 offset:80
	;; [unrolled: 1-line block ×6, first 2 shown]
	s_waitcnt lgkmcnt(4)
	;;#ASMSTART
	v_dot2_f32_f16 v47, v55, v51, v47
	;;#ASMEND
	;;#ASMSTART
	v_dot2_f32_f16 v47, v56, v52, v47
	;;#ASMEND
	;; [unrolled: 3-line block ×4, first 2 shown]
	s_waitcnt lgkmcnt(0)
	;;#ASMSTART
	v_dot2_f32_f16 v43, v55, v71, v43
	;;#ASMEND
	;;#ASMSTART
	v_dot2_f32_f16 v43, v56, v72, v43
	;;#ASMEND
	;; [unrolled: 3-line block ×28, first 2 shown]
	ds_read_b128 v[51:54], v18 offset:352
	ds_read_b128 v[55:58], v22 offset:96
	;; [unrolled: 1-line block ×6, first 2 shown]
	s_waitcnt lgkmcnt(4)
	;;#ASMSTART
	v_dot2_f32_f16 v47, v55, v51, v47
	;;#ASMEND
	;;#ASMSTART
	v_dot2_f32_f16 v47, v56, v52, v47
	;;#ASMEND
	;; [unrolled: 3-line block ×4, first 2 shown]
	s_waitcnt lgkmcnt(0)
	;;#ASMSTART
	v_dot2_f32_f16 v43, v55, v71, v43
	;;#ASMEND
	;;#ASMSTART
	v_dot2_f32_f16 v43, v56, v72, v43
	;;#ASMEND
	;; [unrolled: 3-line block ×28, first 2 shown]
	ds_read_b128 v[51:54], v18 offset:368
	ds_read_b128 v[55:58], v22 offset:112
	;; [unrolled: 1-line block ×6, first 2 shown]
	s_waitcnt lgkmcnt(4)
	;;#ASMSTART
	v_dot2_f32_f16 v47, v55, v51, v47
	;;#ASMEND
	;;#ASMSTART
	v_dot2_f32_f16 v47, v56, v52, v47
	;;#ASMEND
	;; [unrolled: 3-line block ×4, first 2 shown]
	s_waitcnt lgkmcnt(0)
	;;#ASMSTART
	v_dot2_f32_f16 v43, v55, v71, v43
	;;#ASMEND
	;;#ASMSTART
	v_dot2_f32_f16 v43, v56, v72, v43
	;;#ASMEND
	;; [unrolled: 3-line block ×28, first 2 shown]
	s_barrier
	global_load_dwordx4 v[51:54], v[11:12], off offset:384
	global_load_dwordx4 v[55:58], v[13:14], off offset:384
	s_waitcnt vmcnt(1)
	ds_write_b128 v20, v[51:54]
	s_waitcnt vmcnt(0)
	ds_write_b128 v21, v[55:58]
	s_waitcnt lgkmcnt(0)
	s_barrier
	ds_read_b128 v[51:54], v18 offset:384
	ds_read_b128 v[55:58], v22
	ds_read_b128 v[59:62], v22 offset:4608
	ds_read_b128 v[63:66], v22 offset:9216
	;; [unrolled: 1-line block ×4, first 2 shown]
	s_waitcnt lgkmcnt(4)
	;;#ASMSTART
	v_dot2_f32_f16 v47, v55, v51, v47
	;;#ASMEND
	;;#ASMSTART
	v_dot2_f32_f16 v47, v56, v52, v47
	;;#ASMEND
	;; [unrolled: 3-line block ×4, first 2 shown]
	s_waitcnt lgkmcnt(0)
	;;#ASMSTART
	v_dot2_f32_f16 v43, v55, v71, v43
	;;#ASMEND
	;;#ASMSTART
	v_dot2_f32_f16 v43, v56, v72, v43
	;;#ASMEND
	;; [unrolled: 3-line block ×28, first 2 shown]
	ds_read_b128 v[51:54], v18 offset:400
	ds_read_b128 v[55:58], v22 offset:16
	;; [unrolled: 1-line block ×6, first 2 shown]
	s_waitcnt lgkmcnt(4)
	;;#ASMSTART
	v_dot2_f32_f16 v47, v55, v51, v47
	;;#ASMEND
	;;#ASMSTART
	v_dot2_f32_f16 v47, v56, v52, v47
	;;#ASMEND
	;;#ASMSTART
	v_dot2_f32_f16 v47, v57, v53, v47
	;;#ASMEND
	;;#ASMSTART
	v_dot2_f32_f16 v47, v58, v54, v47
	;;#ASMEND
	s_waitcnt lgkmcnt(0)
	;;#ASMSTART
	v_dot2_f32_f16 v43, v55, v71, v43
	;;#ASMEND
	;;#ASMSTART
	v_dot2_f32_f16 v43, v56, v72, v43
	;;#ASMEND
	;; [unrolled: 3-line block ×28, first 2 shown]
	ds_read_b128 v[51:54], v18 offset:416
	ds_read_b128 v[55:58], v22 offset:32
	;; [unrolled: 1-line block ×6, first 2 shown]
	s_waitcnt lgkmcnt(4)
	;;#ASMSTART
	v_dot2_f32_f16 v47, v55, v51, v47
	;;#ASMEND
	;;#ASMSTART
	v_dot2_f32_f16 v47, v56, v52, v47
	;;#ASMEND
	;; [unrolled: 3-line block ×4, first 2 shown]
	s_waitcnt lgkmcnt(0)
	;;#ASMSTART
	v_dot2_f32_f16 v43, v55, v71, v43
	;;#ASMEND
	;;#ASMSTART
	v_dot2_f32_f16 v43, v56, v72, v43
	;;#ASMEND
	;; [unrolled: 3-line block ×28, first 2 shown]
	ds_read_b128 v[51:54], v18 offset:432
	ds_read_b128 v[55:58], v22 offset:48
	;; [unrolled: 1-line block ×6, first 2 shown]
	s_waitcnt lgkmcnt(4)
	;;#ASMSTART
	v_dot2_f32_f16 v47, v55, v51, v47
	;;#ASMEND
	;;#ASMSTART
	v_dot2_f32_f16 v47, v56, v52, v47
	;;#ASMEND
	;; [unrolled: 3-line block ×4, first 2 shown]
	s_waitcnt lgkmcnt(0)
	;;#ASMSTART
	v_dot2_f32_f16 v43, v55, v71, v43
	;;#ASMEND
	;;#ASMSTART
	v_dot2_f32_f16 v43, v56, v72, v43
	;;#ASMEND
	;; [unrolled: 3-line block ×28, first 2 shown]
	ds_read_b128 v[51:54], v18 offset:448
	ds_read_b128 v[55:58], v22 offset:64
	;; [unrolled: 1-line block ×6, first 2 shown]
	s_waitcnt lgkmcnt(4)
	;;#ASMSTART
	v_dot2_f32_f16 v47, v55, v51, v47
	;;#ASMEND
	;;#ASMSTART
	v_dot2_f32_f16 v47, v56, v52, v47
	;;#ASMEND
	;; [unrolled: 3-line block ×4, first 2 shown]
	s_waitcnt lgkmcnt(0)
	;;#ASMSTART
	v_dot2_f32_f16 v43, v55, v71, v43
	;;#ASMEND
	;;#ASMSTART
	v_dot2_f32_f16 v43, v56, v72, v43
	;;#ASMEND
	;; [unrolled: 3-line block ×28, first 2 shown]
	ds_read_b128 v[51:54], v18 offset:464
	ds_read_b128 v[55:58], v22 offset:80
	;; [unrolled: 1-line block ×6, first 2 shown]
	s_waitcnt lgkmcnt(4)
	;;#ASMSTART
	v_dot2_f32_f16 v47, v55, v51, v47
	;;#ASMEND
	;;#ASMSTART
	v_dot2_f32_f16 v47, v56, v52, v47
	;;#ASMEND
	;; [unrolled: 3-line block ×4, first 2 shown]
	s_waitcnt lgkmcnt(0)
	;;#ASMSTART
	v_dot2_f32_f16 v43, v55, v71, v43
	;;#ASMEND
	;;#ASMSTART
	v_dot2_f32_f16 v43, v56, v72, v43
	;;#ASMEND
	;; [unrolled: 3-line block ×28, first 2 shown]
	ds_read_b128 v[51:54], v18 offset:480
	ds_read_b128 v[55:58], v22 offset:96
	;; [unrolled: 1-line block ×6, first 2 shown]
	s_waitcnt lgkmcnt(4)
	;;#ASMSTART
	v_dot2_f32_f16 v47, v55, v51, v47
	;;#ASMEND
	;;#ASMSTART
	v_dot2_f32_f16 v47, v56, v52, v47
	;;#ASMEND
	;;#ASMSTART
	v_dot2_f32_f16 v47, v57, v53, v47
	;;#ASMEND
	;;#ASMSTART
	v_dot2_f32_f16 v47, v58, v54, v47
	;;#ASMEND
	s_waitcnt lgkmcnt(0)
	;;#ASMSTART
	v_dot2_f32_f16 v43, v55, v71, v43
	;;#ASMEND
	;;#ASMSTART
	v_dot2_f32_f16 v43, v56, v72, v43
	;;#ASMEND
	;; [unrolled: 3-line block ×28, first 2 shown]
	ds_read_b128 v[51:54], v18 offset:496
	ds_read_b128 v[55:58], v22 offset:112
	;; [unrolled: 1-line block ×6, first 2 shown]
	s_waitcnt lgkmcnt(4)
	;;#ASMSTART
	v_dot2_f32_f16 v47, v55, v51, v47
	;;#ASMEND
	;;#ASMSTART
	v_dot2_f32_f16 v47, v56, v52, v47
	;;#ASMEND
	;; [unrolled: 3-line block ×4, first 2 shown]
	s_waitcnt lgkmcnt(0)
	;;#ASMSTART
	v_dot2_f32_f16 v43, v55, v71, v43
	;;#ASMEND
	;;#ASMSTART
	v_dot2_f32_f16 v43, v56, v72, v43
	;;#ASMEND
	;; [unrolled: 3-line block ×28, first 2 shown]
	s_barrier
	global_load_dwordx4 v[51:54], v[11:12], off offset:512
	s_nop 0
	global_load_dwordx4 v[11:14], v[13:14], off offset:512
	s_waitcnt vmcnt(1)
	ds_write_b128 v20, v[51:54]
	s_waitcnt vmcnt(0)
	ds_write_b128 v21, v[11:14]
	s_waitcnt lgkmcnt(0)
	s_barrier
	ds_read_b128 v[11:14], v18 offset:512
	ds_read_b128 v[51:54], v22
	ds_read_b128 v[55:58], v22 offset:4608
	ds_read_b128 v[59:62], v22 offset:9216
	;; [unrolled: 1-line block ×4, first 2 shown]
	s_waitcnt lgkmcnt(4)
	;;#ASMSTART
	v_dot2_f32_f16 v47, v51, v11, v47
	;;#ASMEND
	;;#ASMSTART
	v_dot2_f32_f16 v47, v52, v12, v47
	;;#ASMEND
	;;#ASMSTART
	v_dot2_f32_f16 v47, v53, v13, v47
	;;#ASMEND
	;;#ASMSTART
	v_dot2_f32_f16 v47, v54, v14, v47
	;;#ASMEND
	s_waitcnt lgkmcnt(0)
	;;#ASMSTART
	v_dot2_f32_f16 v43, v51, v67, v43
	;;#ASMEND
	;;#ASMSTART
	v_dot2_f32_f16 v43, v52, v68, v43
	;;#ASMEND
	;; [unrolled: 3-line block ×28, first 2 shown]
	ds_read_b128 v[11:14], v18 offset:528
	ds_read_b128 v[51:54], v22 offset:16
	ds_read_b128 v[55:58], v22 offset:4624
	ds_read_b128 v[59:62], v22 offset:9232
	ds_read_b128 v[63:66], v22 offset:13840
	ds_read_b128 v[67:70], v18 offset:1168
	s_waitcnt lgkmcnt(4)
	;;#ASMSTART
	v_dot2_f32_f16 v47, v51, v11, v47
	;;#ASMEND
	;;#ASMSTART
	v_dot2_f32_f16 v47, v52, v12, v47
	;;#ASMEND
	;; [unrolled: 3-line block ×4, first 2 shown]
	s_waitcnt lgkmcnt(0)
	;;#ASMSTART
	v_dot2_f32_f16 v43, v51, v67, v43
	;;#ASMEND
	;;#ASMSTART
	v_dot2_f32_f16 v43, v52, v68, v43
	;;#ASMEND
	;; [unrolled: 3-line block ×28, first 2 shown]
	ds_read_b128 v[11:14], v18 offset:544
	ds_read_b128 v[51:54], v22 offset:32
	;; [unrolled: 1-line block ×6, first 2 shown]
	s_waitcnt lgkmcnt(4)
	;;#ASMSTART
	v_dot2_f32_f16 v47, v51, v11, v47
	;;#ASMEND
	;;#ASMSTART
	v_dot2_f32_f16 v47, v52, v12, v47
	;;#ASMEND
	;; [unrolled: 3-line block ×4, first 2 shown]
	s_waitcnt lgkmcnt(0)
	;;#ASMSTART
	v_dot2_f32_f16 v43, v51, v67, v43
	;;#ASMEND
	;;#ASMSTART
	v_dot2_f32_f16 v43, v52, v68, v43
	;;#ASMEND
	;; [unrolled: 3-line block ×28, first 2 shown]
	ds_read_b128 v[11:14], v18 offset:560
	ds_read_b128 v[51:54], v22 offset:48
	;; [unrolled: 1-line block ×6, first 2 shown]
	s_waitcnt lgkmcnt(4)
	;;#ASMSTART
	v_dot2_f32_f16 v47, v51, v11, v47
	;;#ASMEND
	;;#ASMSTART
	v_dot2_f32_f16 v47, v52, v12, v47
	;;#ASMEND
	;; [unrolled: 3-line block ×4, first 2 shown]
	s_waitcnt lgkmcnt(0)
	;;#ASMSTART
	v_dot2_f32_f16 v43, v51, v67, v43
	;;#ASMEND
	;;#ASMSTART
	v_dot2_f32_f16 v43, v52, v68, v43
	;;#ASMEND
	;; [unrolled: 3-line block ×28, first 2 shown]
	ds_read_b128 v[11:14], v18 offset:576
	ds_read_b128 v[51:54], v22 offset:64
	;; [unrolled: 1-line block ×6, first 2 shown]
	s_waitcnt lgkmcnt(4)
	;;#ASMSTART
	v_dot2_f32_f16 v47, v51, v11, v47
	;;#ASMEND
	;;#ASMSTART
	v_dot2_f32_f16 v47, v52, v12, v47
	;;#ASMEND
	;;#ASMSTART
	v_dot2_f32_f16 v47, v53, v13, v47
	;;#ASMEND
	;;#ASMSTART
	v_dot2_f32_f16 v47, v54, v14, v47
	;;#ASMEND
	s_waitcnt lgkmcnt(0)
	;;#ASMSTART
	v_dot2_f32_f16 v43, v51, v67, v43
	;;#ASMEND
	;;#ASMSTART
	v_dot2_f32_f16 v43, v52, v68, v43
	;;#ASMEND
	;; [unrolled: 3-line block ×28, first 2 shown]
	ds_read_b128 v[11:14], v18 offset:592
	ds_read_b128 v[51:54], v22 offset:80
	;; [unrolled: 1-line block ×6, first 2 shown]
	s_waitcnt lgkmcnt(4)
	;;#ASMSTART
	v_dot2_f32_f16 v47, v51, v11, v47
	;;#ASMEND
	;;#ASMSTART
	v_dot2_f32_f16 v47, v52, v12, v47
	;;#ASMEND
	;; [unrolled: 3-line block ×4, first 2 shown]
	s_waitcnt lgkmcnt(0)
	;;#ASMSTART
	v_dot2_f32_f16 v43, v51, v67, v43
	;;#ASMEND
	;;#ASMSTART
	v_dot2_f32_f16 v43, v52, v68, v43
	;;#ASMEND
	;; [unrolled: 3-line block ×28, first 2 shown]
	ds_read_b128 v[11:14], v18 offset:608
	ds_read_b128 v[51:54], v22 offset:96
	;; [unrolled: 1-line block ×6, first 2 shown]
	s_waitcnt lgkmcnt(4)
	;;#ASMSTART
	v_dot2_f32_f16 v47, v51, v11, v47
	;;#ASMEND
	;;#ASMSTART
	v_dot2_f32_f16 v47, v52, v12, v47
	;;#ASMEND
	;; [unrolled: 3-line block ×4, first 2 shown]
	s_waitcnt lgkmcnt(0)
	;;#ASMSTART
	v_dot2_f32_f16 v43, v51, v67, v43
	;;#ASMEND
	;;#ASMSTART
	v_dot2_f32_f16 v43, v52, v68, v43
	;;#ASMEND
	;; [unrolled: 3-line block ×28, first 2 shown]
	ds_read_b128 v[11:14], v18 offset:624
	ds_read_b128 v[51:54], v22 offset:112
	;; [unrolled: 1-line block ×6, first 2 shown]
	s_waitcnt lgkmcnt(4)
	;;#ASMSTART
	v_dot2_f32_f16 v47, v51, v11, v47
	;;#ASMEND
	;;#ASMSTART
	v_dot2_f32_f16 v47, v52, v12, v47
	;;#ASMEND
	;; [unrolled: 3-line block ×4, first 2 shown]
	s_waitcnt lgkmcnt(0)
	;;#ASMSTART
	v_dot2_f32_f16 v43, v51, v67, v43
	;;#ASMEND
	;;#ASMSTART
	v_dot2_f32_f16 v43, v52, v68, v43
	;;#ASMEND
	;; [unrolled: 3-line block ×27, first 2 shown]
	v_cmp_nlt_f32_e64 s[8:9], |v47|, s19
	;;#ASMSTART
	v_dot2_f32_f16 v46, v66, v70, v46
	;;#ASMEND
                                        ; implicit-def: $vgpr13
	s_and_saveexec_b64 s[36:37], s[8:9]
	s_xor_b64 s[8:9], exec, s[36:37]
	s_cbranch_execz .LBB5_18
; %bb.17:                               ;   in Loop: Header=BB5_16 Depth=1
	v_add_f32_e64 v11, |v47|, |v47|
	v_mul_f32_e32 v12, 0x3fb8aa3b, v11
	v_rndne_f32_e32 v13, v12
	v_sub_f32_e32 v14, v12, v13
	v_fma_f32 v12, v11, s24, -v12
	v_fmac_f32_e32 v12, 0x32a5705f, v11
	v_add_f32_e32 v12, v14, v12
	v_cvt_i32_f32_e32 v13, v13
	v_exp_f32_e32 v12, v12
	v_cmp_ngt_f32_e32 vcc, s25, v11
	v_ldexp_f32 v12, v12, v13
	v_cndmask_b32_e32 v12, 0, v12, vcc
	v_cmp_nlt_f32_e32 vcc, s26, v11
	v_cndmask_b32_e32 v11, v30, v12, vcc
	v_add_f32_e32 v11, 1.0, v11
	v_rcp_f32_e32 v11, v11
	v_fma_f32 v13, v11, -2.0, 1.0
.LBB5_18:                               ;   in Loop: Header=BB5_16 Depth=1
	s_andn2_saveexec_b64 s[8:9], s[8:9]
; %bb.19:                               ;   in Loop: Header=BB5_16 Depth=1
	v_mul_f32_e32 v11, v47, v47
	v_mov_b32_e32 v12, 0x3ca908c9
	v_fmac_f32_e32 v12, 0xbbbac73d, v11
	v_fma_f32 v12, v11, v12, v27
	v_fma_f32 v12, v11, v12, v28
	;; [unrolled: 1-line block ×3, first 2 shown]
	v_mul_f32_e64 v12, |v47|, v12
	v_fma_f32 v13, v11, v12, |v47|
; %bb.20:                               ;   in Loop: Header=BB5_16 Depth=1
	s_or_b64 exec, exec, s[8:9]
	v_add_u32_e32 v11, s6, v2
	v_ashrrev_i32_e32 v12, 31, v11
	v_lshlrev_b64 v[11:12], 1, v[11:12]
	v_mov_b32_e32 v14, s31
	v_add_co_u32_e32 v11, vcc, s30, v11
	v_addc_co_u32_e32 v12, vcc, v14, v12, vcc
	global_load_ushort v52, v[11:12], off
	v_cmp_nlt_f32_e64 s[8:9], |v48|, s19
                                        ; implicit-def: $vgpr14
	s_and_saveexec_b64 s[36:37], s[8:9]
	s_xor_b64 s[8:9], exec, s[36:37]
	s_cbranch_execz .LBB5_22
; %bb.21:                               ;   in Loop: Header=BB5_16 Depth=1
	v_add_f32_e64 v14, |v48|, |v48|
	v_mul_f32_e32 v51, 0x3fb8aa3b, v14
	v_rndne_f32_e32 v53, v51
	v_sub_f32_e32 v54, v51, v53
	v_fma_f32 v51, v14, s24, -v51
	v_fmac_f32_e32 v51, 0x32a5705f, v14
	v_add_f32_e32 v51, v54, v51
	v_cvt_i32_f32_e32 v53, v53
	v_exp_f32_e32 v51, v51
	v_cmp_ngt_f32_e32 vcc, s25, v14
	v_ldexp_f32 v51, v51, v53
	v_cndmask_b32_e32 v51, 0, v51, vcc
	v_cmp_nlt_f32_e32 vcc, s26, v14
	v_cndmask_b32_e32 v14, v30, v51, vcc
	v_add_f32_e32 v14, 1.0, v14
	v_rcp_f32_e32 v14, v14
	v_fma_f32 v14, v14, -2.0, 1.0
.LBB5_22:                               ;   in Loop: Header=BB5_16 Depth=1
	s_andn2_saveexec_b64 s[8:9], s[8:9]
; %bb.23:                               ;   in Loop: Header=BB5_16 Depth=1
	v_mul_f32_e32 v14, v48, v48
	v_mov_b32_e32 v51, 0x3ca908c9
	v_fmac_f32_e32 v51, 0xbbbac73d, v14
	v_fma_f32 v51, v14, v51, v27
	v_fma_f32 v51, v14, v51, v28
	;; [unrolled: 1-line block ×3, first 2 shown]
	v_mul_f32_e64 v51, |v48|, v51
	v_fma_f32 v14, v14, v51, |v48|
; %bb.24:                               ;   in Loop: Header=BB5_16 Depth=1
	s_or_b64 exec, exec, s[8:9]
	global_load_ushort v53, v[11:12], off offset:64
	v_cmp_nlt_f32_e64 s[8:9], |v49|, s19
                                        ; implicit-def: $vgpr51
	s_and_saveexec_b64 s[36:37], s[8:9]
	s_xor_b64 s[8:9], exec, s[36:37]
	s_cbranch_execz .LBB5_26
; %bb.25:                               ;   in Loop: Header=BB5_16 Depth=1
	v_add_f32_e64 v51, |v49|, |v49|
	v_mul_f32_e32 v54, 0x3fb8aa3b, v51
	v_rndne_f32_e32 v55, v54
	v_sub_f32_e32 v56, v54, v55
	v_fma_f32 v54, v51, s24, -v54
	v_fmac_f32_e32 v54, 0x32a5705f, v51
	v_add_f32_e32 v54, v56, v54
	v_cvt_i32_f32_e32 v55, v55
	v_exp_f32_e32 v54, v54
	v_cmp_ngt_f32_e32 vcc, s25, v51
	v_ldexp_f32 v54, v54, v55
	v_cndmask_b32_e32 v54, 0, v54, vcc
	v_cmp_nlt_f32_e32 vcc, s26, v51
	v_cndmask_b32_e32 v51, v30, v54, vcc
	v_add_f32_e32 v51, 1.0, v51
	v_rcp_f32_e32 v51, v51
	v_fma_f32 v51, v51, -2.0, 1.0
.LBB5_26:                               ;   in Loop: Header=BB5_16 Depth=1
	s_andn2_saveexec_b64 s[8:9], s[8:9]
; %bb.27:                               ;   in Loop: Header=BB5_16 Depth=1
	v_mul_f32_e32 v51, v49, v49
	v_mov_b32_e32 v54, 0x3ca908c9
	v_fmac_f32_e32 v54, 0xbbbac73d, v51
	v_fma_f32 v54, v51, v54, v27
	v_fma_f32 v54, v51, v54, v28
	;; [unrolled: 1-line block ×3, first 2 shown]
	v_mul_f32_e64 v54, |v49|, v54
	v_fma_f32 v51, v51, v54, |v49|
; %bb.28:                               ;   in Loop: Header=BB5_16 Depth=1
	s_or_b64 exec, exec, s[8:9]
	global_load_ushort v54, v[11:12], off offset:128
	v_cmp_nlt_f32_e64 s[8:9], |v50|, s19
                                        ; implicit-def: $vgpr57
	s_and_saveexec_b64 s[36:37], s[8:9]
	s_xor_b64 s[8:9], exec, s[36:37]
	s_cbranch_execz .LBB5_30
; %bb.29:                               ;   in Loop: Header=BB5_16 Depth=1
	v_add_f32_e64 v55, |v50|, |v50|
	v_mul_f32_e32 v56, 0x3fb8aa3b, v55
	v_rndne_f32_e32 v57, v56
	v_sub_f32_e32 v58, v56, v57
	v_fma_f32 v56, v55, s24, -v56
	v_fmac_f32_e32 v56, 0x32a5705f, v55
	v_add_f32_e32 v56, v58, v56
	v_cvt_i32_f32_e32 v57, v57
	v_exp_f32_e32 v56, v56
	v_cmp_ngt_f32_e32 vcc, s25, v55
	v_ldexp_f32 v56, v56, v57
	v_cndmask_b32_e32 v56, 0, v56, vcc
	v_cmp_nlt_f32_e32 vcc, s26, v55
	v_cndmask_b32_e32 v55, v30, v56, vcc
	v_add_f32_e32 v55, 1.0, v55
	v_rcp_f32_e32 v55, v55
	v_fma_f32 v57, v55, -2.0, 1.0
.LBB5_30:                               ;   in Loop: Header=BB5_16 Depth=1
	s_andn2_saveexec_b64 s[8:9], s[8:9]
; %bb.31:                               ;   in Loop: Header=BB5_16 Depth=1
	v_mul_f32_e32 v55, v50, v50
	v_mov_b32_e32 v56, 0x3ca908c9
	v_fmac_f32_e32 v56, 0xbbbac73d, v55
	v_fma_f32 v56, v55, v56, v27
	v_fma_f32 v56, v55, v56, v28
	;; [unrolled: 1-line block ×3, first 2 shown]
	v_mul_f32_e64 v56, |v50|, v56
	v_fma_f32 v57, v55, v56, |v50|
; %bb.32:                               ;   in Loop: Header=BB5_16 Depth=1
	s_or_b64 exec, exec, s[8:9]
	global_load_ushort v60, v[11:12], off offset:192
	v_bfi_b32 v11, s27, v13, v47
	v_bfi_b32 v13, s27, v14, v48
	s_waitcnt vmcnt(3)
	v_fma_mix_f32 v12, s14, v11, v52 op_sel_hi:[0,0,1]
	s_waitcnt vmcnt(2)
	v_fma_mix_f32 v56, s14, v13, v53 op_sel_hi:[0,0,1]
	v_add_f32_e32 v11, 0x40051340, v12
	v_add_f32_e32 v13, 0x40051340, v56
	v_max3_f32 v14, v42, v11, v13
	v_bfi_b32 v11, s27, v51, v49
	s_waitcnt vmcnt(1)
	v_fma_mix_f32 v55, s14, v11, v54 op_sel_hi:[0,0,1]
	v_and_b32_e32 v11, 0x60, v19
	v_add_u32_e32 v13, 32, v11
	v_xor_b32_e32 v51, 16, v19
	v_bfi_b32 v48, s27, v57, v50
	v_cmp_lt_i32_e32 vcc, v51, v13
	v_add_f32_e32 v47, 0x40051340, v55
	v_cndmask_b32_e32 v11, v19, v51, vcc
	v_lshlrev_b32_e32 v11, 2, v11
	v_cmp_nlt_f32_e64 s[8:9], |v43|, s19
                                        ; implicit-def: $vgpr65
	s_waitcnt vmcnt(0)
	v_fma_mix_f32 v50, s14, v48, v60 op_sel_hi:[0,0,1]
	v_add_f32_e32 v48, 0x40051340, v50
	v_max3_f32 v47, v14, v47, v48
	ds_bpermute_b32 v48, v11, v47
	v_xor_b32_e32 v14, 8, v19
	v_cmp_lt_i32_e32 vcc, v14, v13
	v_cndmask_b32_e32 v49, v19, v14, vcc
	v_lshlrev_b32_e32 v59, 2, v49
	s_waitcnt lgkmcnt(0)
	v_max_f32_e32 v48, v48, v48
	v_max_f32_e32 v48, v47, v48
	ds_bpermute_b32 v49, v59, v48
	v_xor_b32_e32 v47, 4, v19
	v_cmp_lt_i32_e32 vcc, v47, v13
	v_cndmask_b32_e32 v57, v19, v47, vcc
	v_lshlrev_b32_e32 v61, 2, v57
	s_waitcnt lgkmcnt(0)
	v_max_f32_e32 v49, v49, v49
	v_max_f32_e32 v49, v48, v49
	;; [unrolled: 8-line block ×4, first 2 shown]
	ds_bpermute_b32 v64, v58, v63
	s_and_saveexec_b64 s[36:37], s[8:9]
	s_xor_b64 s[8:9], exec, s[36:37]
	s_cbranch_execz .LBB5_34
; %bb.33:                               ;   in Loop: Header=BB5_16 Depth=1
	v_add_f32_e64 v57, |v43|, |v43|
	v_mul_f32_e32 v65, 0x3fb8aa3b, v57
	v_rndne_f32_e32 v66, v65
	v_sub_f32_e32 v67, v65, v66
	v_fma_f32 v65, v57, s24, -v65
	v_fmac_f32_e32 v65, 0x32a5705f, v57
	v_add_f32_e32 v65, v67, v65
	v_cvt_i32_f32_e32 v66, v66
	v_exp_f32_e32 v65, v65
	v_cmp_ngt_f32_e32 vcc, s25, v57
	v_ldexp_f32 v65, v65, v66
	v_cndmask_b32_e32 v65, 0, v65, vcc
	v_cmp_nlt_f32_e32 vcc, s26, v57
	v_cndmask_b32_e32 v57, v30, v65, vcc
	v_add_f32_e32 v57, 1.0, v57
	v_rcp_f32_e32 v57, v57
	v_fma_f32 v65, v57, -2.0, 1.0
.LBB5_34:                               ;   in Loop: Header=BB5_16 Depth=1
	s_andn2_saveexec_b64 s[8:9], s[8:9]
; %bb.35:                               ;   in Loop: Header=BB5_16 Depth=1
	v_mul_f32_e32 v57, v43, v43
	v_mov_b32_e32 v65, 0x3ca908c9
	v_fmac_f32_e32 v65, 0xbbbac73d, v57
	v_fma_f32 v65, v57, v65, v27
	v_fma_f32 v65, v57, v65, v28
	;; [unrolled: 1-line block ×3, first 2 shown]
	v_mul_f32_e64 v65, |v43|, v65
	v_fma_f32 v65, v57, v65, |v43|
; %bb.36:                               ;   in Loop: Header=BB5_16 Depth=1
	s_or_b64 exec, exec, s[8:9]
	v_cmp_nlt_f32_e64 s[8:9], |v44|, s19
                                        ; implicit-def: $vgpr66
	s_and_saveexec_b64 s[36:37], s[8:9]
	s_xor_b64 s[8:9], exec, s[36:37]
	s_cbranch_execz .LBB5_38
; %bb.37:                               ;   in Loop: Header=BB5_16 Depth=1
	v_add_f32_e64 v57, |v44|, |v44|
	v_mul_f32_e32 v66, 0x3fb8aa3b, v57
	v_rndne_f32_e32 v67, v66
	v_sub_f32_e32 v68, v66, v67
	v_fma_f32 v66, v57, s24, -v66
	v_fmac_f32_e32 v66, 0x32a5705f, v57
	v_add_f32_e32 v66, v68, v66
	v_cvt_i32_f32_e32 v67, v67
	v_exp_f32_e32 v66, v66
	v_cmp_ngt_f32_e32 vcc, s25, v57
	v_ldexp_f32 v66, v66, v67
	v_cndmask_b32_e32 v66, 0, v66, vcc
	v_cmp_nlt_f32_e32 vcc, s26, v57
	v_cndmask_b32_e32 v57, v30, v66, vcc
	v_add_f32_e32 v57, 1.0, v57
	v_rcp_f32_e32 v57, v57
	v_fma_f32 v66, v57, -2.0, 1.0
.LBB5_38:                               ;   in Loop: Header=BB5_16 Depth=1
	s_andn2_saveexec_b64 s[8:9], s[8:9]
; %bb.39:                               ;   in Loop: Header=BB5_16 Depth=1
	v_mul_f32_e32 v57, v44, v44
	v_mov_b32_e32 v66, 0x3ca908c9
	v_fmac_f32_e32 v66, 0xbbbac73d, v57
	v_fma_f32 v66, v57, v66, v27
	v_fma_f32 v66, v57, v66, v28
	;; [unrolled: 1-line block ×3, first 2 shown]
	v_mul_f32_e64 v66, |v44|, v66
	v_fma_f32 v66, v57, v66, |v44|
; %bb.40:                               ;   in Loop: Header=BB5_16 Depth=1
	s_or_b64 exec, exec, s[8:9]
	v_cmp_nlt_f32_e64 s[8:9], |v45|, s19
                                        ; implicit-def: $vgpr67
	s_and_saveexec_b64 s[36:37], s[8:9]
	s_xor_b64 s[8:9], exec, s[36:37]
	s_cbranch_execz .LBB5_42
; %bb.41:                               ;   in Loop: Header=BB5_16 Depth=1
	v_add_f32_e64 v57, |v45|, |v45|
	v_mul_f32_e32 v67, 0x3fb8aa3b, v57
	v_rndne_f32_e32 v68, v67
	v_sub_f32_e32 v69, v67, v68
	v_fma_f32 v67, v57, s24, -v67
	v_fmac_f32_e32 v67, 0x32a5705f, v57
	v_add_f32_e32 v67, v69, v67
	v_cvt_i32_f32_e32 v68, v68
	v_exp_f32_e32 v67, v67
	v_cmp_ngt_f32_e32 vcc, s25, v57
	v_ldexp_f32 v67, v67, v68
	v_cndmask_b32_e32 v67, 0, v67, vcc
	v_cmp_nlt_f32_e32 vcc, s26, v57
	v_cndmask_b32_e32 v57, v30, v67, vcc
	v_add_f32_e32 v57, 1.0, v57
	v_rcp_f32_e32 v57, v57
	v_fma_f32 v67, v57, -2.0, 1.0
.LBB5_42:                               ;   in Loop: Header=BB5_16 Depth=1
	s_andn2_saveexec_b64 s[8:9], s[8:9]
; %bb.43:                               ;   in Loop: Header=BB5_16 Depth=1
	v_mul_f32_e32 v57, v45, v45
	v_mov_b32_e32 v67, 0x3ca908c9
	v_fmac_f32_e32 v67, 0xbbbac73d, v57
	v_fma_f32 v67, v57, v67, v27
	v_fma_f32 v67, v57, v67, v28
	;; [unrolled: 1-line block ×3, first 2 shown]
	v_mul_f32_e64 v67, |v45|, v67
	v_fma_f32 v67, v57, v67, |v45|
; %bb.44:                               ;   in Loop: Header=BB5_16 Depth=1
	s_or_b64 exec, exec, s[8:9]
	v_cmp_nlt_f32_e64 s[8:9], |v46|, s19
                                        ; implicit-def: $vgpr68
	s_and_saveexec_b64 s[36:37], s[8:9]
	s_xor_b64 s[8:9], exec, s[36:37]
	s_cbranch_execz .LBB5_46
; %bb.45:                               ;   in Loop: Header=BB5_16 Depth=1
	v_add_f32_e64 v57, |v46|, |v46|
	v_mul_f32_e32 v68, 0x3fb8aa3b, v57
	v_rndne_f32_e32 v69, v68
	v_sub_f32_e32 v70, v68, v69
	v_fma_f32 v68, v57, s24, -v68
	v_fmac_f32_e32 v68, 0x32a5705f, v57
	v_add_f32_e32 v68, v70, v68
	v_cvt_i32_f32_e32 v69, v69
	v_exp_f32_e32 v68, v68
	v_cmp_ngt_f32_e32 vcc, s25, v57
	v_ldexp_f32 v68, v68, v69
	v_cndmask_b32_e32 v68, 0, v68, vcc
	v_cmp_nlt_f32_e32 vcc, s26, v57
	v_cndmask_b32_e32 v57, v30, v68, vcc
	v_add_f32_e32 v57, 1.0, v57
	v_rcp_f32_e32 v57, v57
	v_fma_f32 v68, v57, -2.0, 1.0
.LBB5_46:                               ;   in Loop: Header=BB5_16 Depth=1
	s_andn2_saveexec_b64 s[8:9], s[8:9]
; %bb.47:                               ;   in Loop: Header=BB5_16 Depth=1
	v_mul_f32_e32 v57, v46, v46
	v_mov_b32_e32 v68, 0x3ca908c9
	v_fmac_f32_e32 v68, 0xbbbac73d, v57
	v_fma_f32 v68, v57, v68, v27
	v_fma_f32 v68, v57, v68, v28
	;; [unrolled: 1-line block ×3, first 2 shown]
	v_mul_f32_e64 v68, |v46|, v68
	v_fma_f32 v68, v57, v68, |v46|
; %bb.48:                               ;   in Loop: Header=BB5_16 Depth=1
	s_or_b64 exec, exec, s[8:9]
	v_cvt_f32_f16_e32 v69, v52
	v_cvt_f32_f16_e32 v57, v53
	;; [unrolled: 1-line block ×4, first 2 shown]
	v_bfi_b32 v43, s27, v65, v43
	v_bfi_b32 v44, s27, v66, v44
	v_fmac_f32_e32 v69, s14, v43
	v_fmac_f32_e32 v57, s14, v44
	v_add_f32_e32 v43, 0x40051340, v69
	v_add_f32_e32 v44, 0x40051340, v57
	v_max3_f32 v43, v40, v43, v44
	v_bfi_b32 v44, s27, v67, v45
	v_bfi_b32 v45, s27, v68, v46
	v_fmac_f32_e32 v53, s14, v44
	v_fmac_f32_e32 v52, s14, v45
	v_add_f32_e32 v44, 0x40051340, v53
	v_add_f32_e32 v45, 0x40051340, v52
	v_max3_f32 v43, v43, v44, v45
	ds_bpermute_b32 v11, v11, v43
	s_waitcnt lgkmcnt(1)
	v_max_f32_e32 v44, v64, v64
	v_max_f32_e32 v45, v63, v63
	s_mul_hi_i32 s9, s6, s15
	s_mul_i32 s8, s6, s15
	s_waitcnt lgkmcnt(0)
	v_max_f32_e32 v11, v11, v11
	v_max_f32_e32 v11, v43, v11
	ds_bpermute_b32 v43, v59, v11
	s_lshl_b64 s[8:9], s[8:9], 2
	s_add_u32 s8, s12, s8
	s_addc_u32 s9, s13, s9
	s_waitcnt lgkmcnt(0)
	v_max_f32_e32 v43, v43, v43
	v_max_f32_e32 v11, v11, v43
	ds_bpermute_b32 v43, v61, v11
	s_waitcnt lgkmcnt(0)
	s_barrier
	v_max_f32_e32 v43, v43, v43
	v_max_f32_e32 v43, v11, v43
	ds_bpermute_b32 v46, v62, v43
	v_max_f32_e32 v11, v45, v44
	v_sub_f32_e32 v44, v12, v11
	v_mul_f32_e32 v12, 0x3fb8aa3b, v44
	v_rndne_f32_e32 v54, v12
	s_waitcnt lgkmcnt(0)
	v_max_f32_e32 v45, v46, v46
	v_max_f32_e32 v43, v43, v45
	ds_bpermute_b32 v45, v58, v43
	v_fma_f32 v46, v44, s24, -v12
	v_fmac_f32_e32 v46, 0x32a5705f, v44
	v_sub_f32_e32 v58, v12, v54
	v_cmp_ngt_f32_e32 vcc, s25, v44
	s_waitcnt lgkmcnt(0)
	v_max_f32_e32 v12, v45, v45
	v_max_f32_e32 v12, v43, v12
	v_add_f32_e32 v43, v58, v46
	v_exp_f32_e32 v43, v43
	v_cvt_i32_f32_e32 v45, v54
	v_sub_f32_e32 v46, v42, v11
	v_sub_f32_e32 v50, v50, v11
	v_ldexp_f32 v42, v43, v45
	v_sub_f32_e32 v43, v56, v11
	v_mul_f32_e32 v45, 0x3fb8aa3b, v43
	v_fma_f32 v54, v43, s24, -v45
	v_rndne_f32_e32 v56, v45
	v_fmac_f32_e32 v54, 0x32a5705f, v43
	v_sub_f32_e32 v45, v45, v56
	v_add_f32_e32 v45, v45, v54
	v_exp_f32_e32 v45, v45
	v_cvt_i32_f32_e32 v54, v56
	v_cndmask_b32_e32 v42, 0, v42, vcc
	v_cmp_nlt_f32_e32 vcc, s26, v44
	v_cndmask_b32_e32 v44, v30, v42, vcc
	v_ldexp_f32 v45, v45, v54
	v_sub_f32_e32 v54, v55, v11
	v_mul_f32_e32 v55, 0x3fb8aa3b, v54
	v_fma_f32 v56, v54, s24, -v55
	v_rndne_f32_e32 v58, v55
	v_fmac_f32_e32 v56, 0x32a5705f, v54
	v_sub_f32_e32 v55, v55, v58
	v_add_f32_e32 v55, v55, v56
	v_exp_f32_e32 v55, v55
	v_cvt_i32_f32_e32 v56, v58
	v_cmp_ngt_f32_e32 vcc, s25, v43
	v_cndmask_b32_e32 v45, 0, v45, vcc
	v_cmp_nlt_f32_e32 vcc, s26, v43
	v_cndmask_b32_e32 v43, v30, v45, vcc
	v_cvt_f16_f32_e32 v42, v44
	v_add_f32_e32 v44, v44, v43
	v_cvt_f16_f32_e32 v45, v43
	v_ldexp_f32 v43, v55, v56
	v_mul_f32_e32 v55, 0x3fb8aa3b, v50
	v_fma_f32 v56, v50, s24, -v55
	v_rndne_f32_e32 v58, v55
	v_fmac_f32_e32 v56, 0x32a5705f, v50
	v_sub_f32_e32 v55, v55, v58
	v_add_f32_e32 v55, v55, v56
	v_exp_f32_e32 v55, v55
	v_cvt_i32_f32_e32 v56, v58
	v_cmp_ngt_f32_e32 vcc, s25, v54
	v_cndmask_b32_e32 v43, 0, v43, vcc
	v_cmp_nlt_f32_e32 vcc, s26, v54
	v_cndmask_b32_e32 v43, v30, v43, vcc
	v_add_f32_e32 v44, v43, v44
	v_cvt_f16_f32_e32 v54, v43
	v_ldexp_f32 v43, v55, v56
	v_mul_f32_e32 v55, 0x3fb8aa3b, v46
	v_fma_f32 v56, v46, s24, -v55
	v_rndne_f32_e32 v58, v55
	v_fmac_f32_e32 v56, 0x32a5705f, v46
	v_sub_f32_e32 v55, v55, v58
	v_add_f32_e32 v55, v55, v56
	v_exp_f32_e32 v55, v55
	v_cvt_i32_f32_e32 v56, v58
	v_cmp_ngt_f32_e32 vcc, s25, v50
	v_cndmask_b32_e32 v43, 0, v43, vcc
	v_cmp_nlt_f32_e32 vcc, s26, v50
	v_cndmask_b32_e32 v50, v30, v43, vcc
	v_ldexp_f32 v43, v55, v56
	v_cmp_ngt_f32_e32 vcc, s25, v46
	v_cndmask_b32_e32 v43, 0, v43, vcc
	v_cmp_nlt_f32_e32 vcc, s26, v46
	v_cndmask_b32_e32 v46, v30, v43, vcc
	v_cvt_f16_f32_e32 v55, v46
	v_add_f32_e32 v43, v50, v44
	v_fmac_f32_e32 v43, v41, v46
	v_sub_f32_e32 v44, v69, v12
	v_mul_u32_u24_e32 v46, 0x10001, v55
	v_pk_mul_f16 v68, v38, v46
	v_mul_f32_e32 v38, 0x3fb8aa3b, v44
	v_fma_f32 v41, v44, s24, -v38
	v_rndne_f32_e32 v55, v38
	v_fmac_f32_e32 v41, 0x32a5705f, v44
	v_sub_f32_e32 v38, v38, v55
	v_add_f32_e32 v38, v38, v41
	v_exp_f32_e32 v38, v38
	v_cvt_i32_f32_e32 v41, v55
	v_pk_mul_f16 v69, v36, v46
	v_pk_mul_f16 v70, v37, v46
	v_mov_b32_e32 v36, s9
	v_add_co_u32_e32 v37, vcc, s8, v7
	v_sub_f32_e32 v55, v40, v12
	v_ldexp_f32 v56, v38, v41
	v_addc_co_u32_e32 v40, vcc, v36, v8, vcc
	v_lshlrev_b32_e32 v38, 2, v16
	v_add_co_u32_e32 v36, vcc, v37, v38
	v_addc_co_u32_e32 v37, vcc, 0, v40, vcc
	v_mov_b32_e32 v40, s9
	v_add_co_u32_e32 v41, vcc, s8, v9
	v_addc_co_u32_e32 v58, vcc, v40, v10, vcc
	v_add_co_u32_e32 v40, vcc, v41, v38
	v_addc_co_u32_e32 v41, vcc, 0, v58, vcc
	global_load_dwordx4 v[58:61], v[36:37], off
	global_load_dwordx4 v[62:65], v[40:41], off
	v_sub_f32_e32 v37, v57, v12
	v_cmp_ngt_f32_e32 vcc, s25, v44
	v_mul_f32_e32 v40, 0x3fb8aa3b, v37
	v_cndmask_b32_e32 v36, 0, v56, vcc
	v_fma_f32 v41, v37, s24, -v40
	v_rndne_f32_e32 v56, v40
	v_fmac_f32_e32 v41, 0x32a5705f, v37
	v_sub_f32_e32 v40, v40, v56
	v_add_f32_e32 v40, v40, v41
	v_exp_f32_e32 v40, v40
	v_cvt_i32_f32_e32 v41, v56
	v_cmp_nlt_f32_e32 vcc, s26, v44
	v_cndmask_b32_e32 v36, v30, v36, vcc
	v_cmp_ngt_f32_e32 vcc, s25, v37
	v_ldexp_f32 v40, v40, v41
	v_sub_f32_e32 v41, v53, v12
	v_mul_f32_e32 v44, 0x3fb8aa3b, v41
	v_fma_f32 v53, v41, s24, -v44
	v_rndne_f32_e32 v57, v44
	v_fmac_f32_e32 v53, 0x32a5705f, v41
	v_sub_f32_e32 v44, v44, v57
	v_add_f32_e32 v44, v44, v53
	v_exp_f32_e32 v44, v44
	v_cvt_i32_f32_e32 v53, v57
	v_cndmask_b32_e32 v40, 0, v40, vcc
	v_cmp_nlt_f32_e32 vcc, s26, v37
	v_cndmask_b32_e32 v37, v30, v40, vcc
	v_ldexp_f32 v40, v44, v53
	v_sub_f32_e32 v44, v52, v12
	v_mul_f32_e32 v52, 0x3fb8aa3b, v44
	v_fma_f32 v53, v44, s24, -v52
	v_rndne_f32_e32 v57, v52
	v_fmac_f32_e32 v53, 0x32a5705f, v44
	v_sub_f32_e32 v52, v52, v57
	v_add_f32_e32 v52, v52, v53
	v_exp_f32_e32 v52, v52
	v_cvt_i32_f32_e32 v53, v57
	v_cmp_ngt_f32_e32 vcc, s25, v41
	v_cndmask_b32_e32 v40, 0, v40, vcc
	v_cmp_nlt_f32_e32 vcc, s26, v41
	v_ldexp_f32 v41, v52, v53
	v_mul_f32_e32 v52, 0x3fb8aa3b, v55
	v_fma_f32 v53, v55, s24, -v52
	v_rndne_f32_e32 v57, v52
	v_fmac_f32_e32 v53, 0x32a5705f, v55
	v_sub_f32_e32 v52, v52, v57
	v_add_f32_e32 v52, v52, v53
	v_exp_f32_e32 v52, v52
	v_cvt_i32_f32_e32 v53, v57
	v_cndmask_b32_e32 v40, v30, v40, vcc
	v_cmp_ngt_f32_e32 vcc, s25, v44
	v_cndmask_b32_e32 v41, 0, v41, vcc
	v_cmp_nlt_f32_e32 vcc, s26, v44
	v_cndmask_b32_e32 v41, v30, v41, vcc
	v_ldexp_f32 v44, v52, v53
	v_cmp_ngt_f32_e32 vcc, s25, v55
	v_cndmask_b32_e32 v44, 0, v44, vcc
	v_cmp_nlt_f32_e32 vcc, s26, v55
	v_cndmask_b32_e32 v52, v30, v44, vcc
	v_cvt_f16_f32_e32 v56, v36
	v_add_f32_e32 v36, v36, v37
	v_cvt_f16_f32_e32 v53, v52
	v_cvt_f16_f32_e32 v37, v37
	v_add_f32_e32 v36, v40, v36
	v_cvt_f16_f32_e32 v50, v50
	;; [unrolled: 3-line block ×3, first 2 shown]
	v_mul_u32_u24_e32 v71, 0x10001, v53
	v_fmac_f32_e32 v44, v39, v52
	v_pk_mul_f16 v72, v31, v71
	v_add_u32_e32 v31, v1, v16
	v_pack_b32_f16 v39, v42, v56
	v_pack_b32_f16 v37, v45, v37
	ds_write2_b32 v31, v39, v37 offset1:32
	v_pack_b32_f16 v37, v54, v40
	v_pack_b32_f16 v36, v50, v36
	ds_write2_b32 v31, v37, v36 offset0:64 offset1:96
	s_waitcnt vmcnt(1)
	ds_write_b128 v23, v[58:61]
	s_waitcnt vmcnt(0)
	ds_write_b128 v24, v[62:65]
	s_waitcnt lgkmcnt(0)
	s_barrier
	ds_read_b128 v[39:42], v1
	ds_read2_b64 v[52:55], v25 offset1:32
	ds_read_b128 v[56:59], v1 offset:16
	ds_read_b128 v[60:63], v1 offset:32
	;; [unrolled: 1-line block ×3, first 2 shown]
	s_waitcnt lgkmcnt(4)
	v_mul_u32_u24_sdwa v36, v39, s34 dst_sel:DWORD dst_unused:UNUSED_PAD src0_sel:WORD_0 src1_sel:DWORD
	v_mul_u32_u24_sdwa v37, v39, s34 dst_sel:DWORD dst_unused:UNUSED_PAD src0_sel:WORD_1 src1_sel:DWORD
	s_waitcnt lgkmcnt(3)
	v_pk_mul_f16 v31, v52, v36
	v_pk_mul_f16 v34, v34, v71
	;; [unrolled: 1-line block ×3, first 2 shown]
	v_pk_fma_f16 v35, v35, v46, v31
	v_pk_mul_f16 v31, v52, v37
	v_pk_fma_f16 v39, v32, v71, v31
	v_pk_fma_f16 v46, v53, v37, v34
	;; [unrolled: 1-line block ×3, first 2 shown]
	ds_read2_b64 v[31:34], v25 offset0:64 offset1:96
	v_pk_fma_f16 v45, v53, v36, v68
	v_pk_fma_f16 v50, v54, v36, v69
	v_mul_u32_u24_sdwa v68, v40, s34 dst_sel:DWORD dst_unused:UNUSED_PAD src0_sel:WORD_0 src1_sel:DWORD
	v_mul_u32_u24_sdwa v40, v40, s34 dst_sel:DWORD dst_unused:UNUSED_PAD src0_sel:WORD_1 src1_sel:DWORD
	v_pk_fma_f16 v36, v55, v36, v70
	v_pk_fma_f16 v37, v55, v37, v72
	s_waitcnt lgkmcnt(0)
	v_pk_fma_f16 v35, v31, v68, v35
	v_pk_fma_f16 v31, v31, v40, v39
	;; [unrolled: 1-line block ×5, first 2 shown]
	ds_read2_b64 v[52:55], v25 offset0:128 offset1:160
	v_pk_fma_f16 v32, v32, v40, v46
	v_pk_fma_f16 v37, v34, v40, v37
	v_mul_u32_u24_sdwa v40, v41, s34 dst_sel:DWORD dst_unused:UNUSED_PAD src0_sel:WORD_0 src1_sel:DWORD
	v_mul_u32_u24_sdwa v41, v41, s34 dst_sel:DWORD dst_unused:UNUSED_PAD src0_sel:WORD_1 src1_sel:DWORD
	v_pk_fma_f16 v36, v34, v68, v36
	s_waitcnt lgkmcnt(0)
	v_pk_fma_f16 v46, v52, v40, v35
	v_pk_fma_f16 v31, v52, v41, v31
	;; [unrolled: 1-line block ×4, first 2 shown]
	ds_read2_b64 v[32:35], v25 offset0:192 offset1:224
	v_pk_fma_f16 v39, v53, v40, v39
	v_pk_fma_f16 v45, v54, v40, v45
	v_mul_u32_u24_sdwa v53, v42, s34 dst_sel:DWORD dst_unused:UNUSED_PAD src0_sel:WORD_0 src1_sel:DWORD
	v_mul_u32_u24_sdwa v54, v42, s34 dst_sel:DWORD dst_unused:UNUSED_PAD src0_sel:WORD_1 src1_sel:DWORD
	s_waitcnt lgkmcnt(0)
	v_pk_fma_f16 v46, v32, v53, v46
	v_pk_fma_f16 v31, v32, v54, v31
	;; [unrolled: 1-line block ×6, first 2 shown]
	v_add_u32_e32 v34, 0x800, v25
	v_pk_fma_f16 v36, v55, v40, v36
	v_pk_fma_f16 v37, v55, v41, v37
	ds_read2_b64 v[39:42], v34 offset1:32
	v_pk_fma_f16 v36, v35, v53, v36
	v_pk_fma_f16 v35, v35, v54, v37
	ds_read2_b64 v[52:55], v34 offset0:64 offset1:96
	v_mul_u32_u24_sdwa v37, v56, s34 dst_sel:DWORD dst_unused:UNUSED_PAD src0_sel:WORD_0 src1_sel:DWORD
	v_mul_u32_u24_sdwa v56, v56, s34 dst_sel:DWORD dst_unused:UNUSED_PAD src0_sel:WORD_1 src1_sel:DWORD
	s_waitcnt lgkmcnt(1)
	v_pk_fma_f16 v46, v39, v37, v46
	v_pk_fma_f16 v31, v39, v56, v31
	;; [unrolled: 1-line block ×7, first 2 shown]
	v_mul_u32_u24_sdwa v37, v57, s34 dst_sel:DWORD dst_unused:UNUSED_PAD src0_sel:WORD_0 src1_sel:DWORD
	v_mul_u32_u24_sdwa v45, v57, s34 dst_sel:DWORD dst_unused:UNUSED_PAD src0_sel:WORD_1 src1_sel:DWORD
	v_pk_fma_f16 v35, v42, v56, v35
	s_waitcnt lgkmcnt(0)
	v_pk_fma_f16 v46, v52, v37, v46
	v_pk_fma_f16 v31, v52, v45, v31
	;; [unrolled: 1-line block ×4, first 2 shown]
	ds_read2_b64 v[39:42], v34 offset0:128 offset1:160
	v_pk_fma_f16 v32, v53, v37, v32
	v_pk_fma_f16 v33, v53, v45, v33
	;; [unrolled: 1-line block ×4, first 2 shown]
	v_mul_u32_u24_sdwa v37, v58, s34 dst_sel:DWORD dst_unused:UNUSED_PAD src0_sel:WORD_0 src1_sel:DWORD
	v_mul_u32_u24_sdwa v45, v58, s34 dst_sel:DWORD dst_unused:UNUSED_PAD src0_sel:WORD_1 src1_sel:DWORD
	s_waitcnt lgkmcnt(0)
	v_pk_fma_f16 v32, v40, v37, v32
	v_pk_fma_f16 v33, v40, v45, v33
	;; [unrolled: 1-line block ×3, first 2 shown]
	ds_read2_b64 v[52:55], v34 offset0:192 offset1:224
	v_pk_fma_f16 v46, v39, v37, v46
	v_pk_fma_f16 v31, v39, v45, v31
	;; [unrolled: 1-line block ×5, first 2 shown]
	v_mul_u32_u24_sdwa v45, v59, s34 dst_sel:DWORD dst_unused:UNUSED_PAD src0_sel:WORD_0 src1_sel:DWORD
	v_mul_u32_u24_sdwa v50, v59, s34 dst_sel:DWORD dst_unused:UNUSED_PAD src0_sel:WORD_1 src1_sel:DWORD
	v_add_u32_e32 v35, 0x1000, v25
	s_waitcnt lgkmcnt(0)
	v_pk_fma_f16 v46, v52, v45, v46
	v_pk_fma_f16 v31, v52, v50, v31
	;; [unrolled: 1-line block ×6, first 2 shown]
	ds_read2_b64 v[39:42], v35 offset1:32
	v_pk_fma_f16 v36, v55, v45, v36
	v_pk_fma_f16 v37, v55, v50, v37
	v_mul_u32_u24_sdwa v45, v60, s34 dst_sel:DWORD dst_unused:UNUSED_PAD src0_sel:WORD_0 src1_sel:DWORD
	v_mul_u32_u24_sdwa v50, v60, s34 dst_sel:DWORD dst_unused:UNUSED_PAD src0_sel:WORD_1 src1_sel:DWORD
	s_waitcnt lgkmcnt(0)
	v_pk_fma_f16 v46, v39, v45, v46
	v_pk_fma_f16 v31, v39, v50, v31
	v_pk_fma_f16 v32, v40, v45, v32
	v_pk_fma_f16 v33, v40, v50, v33
	v_pk_fma_f16 v39, v41, v45, v52
	v_pk_fma_f16 v40, v41, v50, v53
	ds_read2_b64 v[52:55], v35 offset0:64 offset1:96
	v_pk_fma_f16 v36, v42, v45, v36
	v_pk_fma_f16 v37, v42, v50, v37
	v_mul_u32_u24_sdwa v45, v61, s34 dst_sel:DWORD dst_unused:UNUSED_PAD src0_sel:WORD_0 src1_sel:DWORD
	v_mul_u32_u24_sdwa v50, v61, s34 dst_sel:DWORD dst_unused:UNUSED_PAD src0_sel:WORD_1 src1_sel:DWORD
	s_waitcnt lgkmcnt(0)
	v_pk_fma_f16 v46, v52, v45, v46
	v_pk_fma_f16 v31, v52, v50, v31
	v_pk_fma_f16 v32, v53, v45, v32
	v_pk_fma_f16 v33, v53, v50, v33
	v_pk_fma_f16 v52, v54, v45, v39
	v_pk_fma_f16 v53, v54, v50, v40
	ds_read2_b64 v[39:42], v35 offset0:128 offset1:160
	;; [unrolled: 12-line block ×3, first 2 shown]
	v_pk_fma_f16 v45, v42, v45, v36
	v_pk_fma_f16 v37, v42, v50, v37
	v_mul_u32_u24_sdwa v50, v63, s34 dst_sel:DWORD dst_unused:UNUSED_PAD src0_sel:WORD_0 src1_sel:DWORD
	v_mul_u32_u24_sdwa v56, v63, s34 dst_sel:DWORD dst_unused:UNUSED_PAD src0_sel:WORD_1 src1_sel:DWORD
	v_add_u32_e32 v36, 0x1800, v25
	s_waitcnt lgkmcnt(0)
	v_pk_fma_f16 v46, v52, v50, v46
	v_pk_fma_f16 v31, v52, v56, v31
	;; [unrolled: 1-line block ×6, first 2 shown]
	ds_read2_b64 v[39:42], v36 offset1:32
	v_pk_fma_f16 v45, v55, v50, v45
	v_pk_fma_f16 v37, v55, v56, v37
	v_mul_u32_u24_sdwa v50, v64, s34 dst_sel:DWORD dst_unused:UNUSED_PAD src0_sel:WORD_0 src1_sel:DWORD
	v_mul_u32_u24_sdwa v56, v64, s34 dst_sel:DWORD dst_unused:UNUSED_PAD src0_sel:WORD_1 src1_sel:DWORD
	s_waitcnt lgkmcnt(0)
	v_pk_fma_f16 v46, v39, v50, v46
	v_pk_fma_f16 v31, v39, v56, v31
	v_pk_fma_f16 v32, v40, v50, v32
	v_pk_fma_f16 v33, v40, v56, v33
	v_pk_fma_f16 v39, v41, v50, v52
	v_pk_fma_f16 v40, v41, v56, v53
	ds_read2_b64 v[52:55], v36 offset0:64 offset1:96
	v_pk_fma_f16 v45, v42, v50, v45
	v_pk_fma_f16 v37, v42, v56, v37
	v_mul_u32_u24_sdwa v50, v65, s34 dst_sel:DWORD dst_unused:UNUSED_PAD src0_sel:WORD_0 src1_sel:DWORD
	v_mul_u32_u24_sdwa v56, v65, s34 dst_sel:DWORD dst_unused:UNUSED_PAD src0_sel:WORD_1 src1_sel:DWORD
	s_waitcnt lgkmcnt(0)
	v_pk_fma_f16 v46, v52, v50, v46
	v_pk_fma_f16 v31, v52, v56, v31
	v_pk_fma_f16 v32, v53, v50, v32
	v_pk_fma_f16 v33, v53, v56, v33
	v_pk_fma_f16 v52, v54, v50, v39
	v_pk_fma_f16 v53, v54, v56, v40
	ds_read2_b64 v[39:42], v36 offset0:128 offset1:160
	;; [unrolled: 12-line block ×3, first 2 shown]
	v_pk_fma_f16 v41, v42, v50, v45
	v_pk_fma_f16 v37, v42, v56, v37
	v_mul_u32_u24_sdwa v42, v67, s34 dst_sel:DWORD dst_unused:UNUSED_PAD src0_sel:WORD_0 src1_sel:DWORD
	v_mul_u32_u24_sdwa v45, v67, s34 dst_sel:DWORD dst_unused:UNUSED_PAD src0_sel:WORD_1 src1_sel:DWORD
	s_waitcnt lgkmcnt(0)
	v_pk_fma_f16 v46, v52, v42, v46
	v_pk_fma_f16 v50, v52, v45, v31
	;; [unrolled: 1-line block ×6, first 2 shown]
	ds_read_b128 v[39:42], v1 offset:64
	v_add_u32_e32 v31, 0x2000, v25
	ds_read2_b64 v[56:59], v31 offset1:32
	v_pk_fma_f16 v33, v53, v45, v33
	v_pk_fma_f16 v37, v55, v45, v37
	ds_read_b128 v[52:55], v1 offset:80
	s_waitcnt lgkmcnt(2)
	v_mul_u32_u24_sdwa v45, v39, s34 dst_sel:DWORD dst_unused:UNUSED_PAD src0_sel:WORD_0 src1_sel:DWORD
	v_mul_u32_u24_sdwa v39, v39, s34 dst_sel:DWORD dst_unused:UNUSED_PAD src0_sel:WORD_1 src1_sel:DWORD
	s_waitcnt lgkmcnt(1)
	v_pk_fma_f16 v46, v56, v45, v46
	v_pk_fma_f16 v50, v56, v39, v50
	;; [unrolled: 1-line block ×6, first 2 shown]
	ds_read2_b64 v[60:63], v31 offset0:64 offset1:96
	v_pk_fma_f16 v37, v59, v39, v37
	v_mul_u32_u24_sdwa v39, v40, s34 dst_sel:DWORD dst_unused:UNUSED_PAD src0_sel:WORD_0 src1_sel:DWORD
	v_mul_u32_u24_sdwa v40, v40, s34 dst_sel:DWORD dst_unused:UNUSED_PAD src0_sel:WORD_1 src1_sel:DWORD
	v_pk_fma_f16 v45, v59, v45, v64
	s_waitcnt lgkmcnt(0)
	v_pk_fma_f16 v46, v60, v39, v46
	v_pk_fma_f16 v50, v60, v40, v50
	;; [unrolled: 1-line block ×6, first 2 shown]
	ds_read2_b64 v[56:59], v31 offset0:128 offset1:160
	v_pk_fma_f16 v37, v63, v40, v37
	v_mul_u32_u24_sdwa v40, v41, s34 dst_sel:DWORD dst_unused:UNUSED_PAD src0_sel:WORD_0 src1_sel:DWORD
	v_mul_u32_u24_sdwa v41, v41, s34 dst_sel:DWORD dst_unused:UNUSED_PAD src0_sel:WORD_1 src1_sel:DWORD
	v_pk_fma_f16 v39, v63, v39, v45
	s_waitcnt lgkmcnt(0)
	v_pk_fma_f16 v45, v56, v40, v46
	v_pk_fma_f16 v46, v56, v41, v50
	v_pk_fma_f16 v50, v58, v40, v60
	v_pk_fma_f16 v56, v58, v41, v61
	ds_read2_b64 v[60:63], v31 offset0:192 offset1:224
	v_pk_fma_f16 v58, v59, v41, v37
	v_add_u32_e32 v37, 0x2800, v25
	v_pk_fma_f16 v32, v57, v40, v32
	v_pk_fma_f16 v33, v57, v41, v33
	;; [unrolled: 1-line block ×3, first 2 shown]
	v_mul_u32_u24_sdwa v59, v42, s34 dst_sel:DWORD dst_unused:UNUSED_PAD src0_sel:WORD_0 src1_sel:DWORD
	v_mul_u32_u24_sdwa v64, v42, s34 dst_sel:DWORD dst_unused:UNUSED_PAD src0_sel:WORD_1 src1_sel:DWORD
	ds_read2_b64 v[39:42], v37 offset1:32
	s_waitcnt lgkmcnt(1)
	v_pk_fma_f16 v32, v61, v59, v32
	v_pk_fma_f16 v33, v61, v64, v33
	;; [unrolled: 1-line block ×4, first 2 shown]
	v_mul_u32_u24_sdwa v62, v52, s34 dst_sel:DWORD dst_unused:UNUSED_PAD src0_sel:WORD_0 src1_sel:DWORD
	v_mul_u32_u24_sdwa v52, v52, s34 dst_sel:DWORD dst_unused:UNUSED_PAD src0_sel:WORD_1 src1_sel:DWORD
	v_pk_fma_f16 v45, v60, v59, v45
	v_pk_fma_f16 v46, v60, v64, v46
	;; [unrolled: 1-line block ×4, first 2 shown]
	s_waitcnt lgkmcnt(0)
	v_pk_fma_f16 v32, v40, v62, v32
	v_pk_fma_f16 v33, v40, v52, v33
	;; [unrolled: 1-line block ×4, first 2 shown]
	ds_read2_b64 v[56:59], v37 offset0:64 offset1:96
	v_pk_fma_f16 v45, v39, v62, v45
	v_pk_fma_f16 v39, v39, v52, v46
	;; [unrolled: 1-line block ×3, first 2 shown]
	v_mul_u32_u24_sdwa v52, v53, s34 dst_sel:DWORD dst_unused:UNUSED_PAD src0_sel:WORD_0 src1_sel:DWORD
	v_mul_u32_u24_sdwa v53, v53, s34 dst_sel:DWORD dst_unused:UNUSED_PAD src0_sel:WORD_1 src1_sel:DWORD
	v_pk_fma_f16 v46, v42, v62, v60
	s_waitcnt lgkmcnt(0)
	v_pk_fma_f16 v45, v56, v52, v45
	v_pk_fma_f16 v56, v56, v53, v39
	;; [unrolled: 1-line block ×6, first 2 shown]
	ds_read2_b64 v[39:42], v37 offset0:128 offset1:160
	v_pk_fma_f16 v46, v59, v52, v46
	v_pk_fma_f16 v50, v59, v53, v50
	v_mul_u32_u24_sdwa v52, v54, s34 dst_sel:DWORD dst_unused:UNUSED_PAD src0_sel:WORD_0 src1_sel:DWORD
	v_mul_u32_u24_sdwa v53, v54, s34 dst_sel:DWORD dst_unused:UNUSED_PAD src0_sel:WORD_1 src1_sel:DWORD
	s_waitcnt lgkmcnt(0)
	v_pk_fma_f16 v45, v39, v52, v45
	v_pk_fma_f16 v39, v39, v53, v56
	;; [unrolled: 1-line block ×6, first 2 shown]
	ds_read2_b64 v[56:59], v37 offset0:192 offset1:224
	s_or_b32 s8, s6, 32
	s_mul_hi_i32 s9, s8, s15
	s_mul_i32 s8, s8, s15
	s_lshl_b64 s[8:9], s[8:9], 2
	s_add_u32 s8, s12, s8
	v_pk_fma_f16 v46, v42, v52, v46
	v_pk_fma_f16 v50, v42, v53, v50
	v_mul_u32_u24_sdwa v42, v55, s34 dst_sel:DWORD dst_unused:UNUSED_PAD src0_sel:WORD_0 src1_sel:DWORD
	s_addc_u32 s9, s13, s9
	s_waitcnt lgkmcnt(0)
	v_pk_fma_f16 v96, v56, v42, v45
	v_pk_fma_f16 v102, v59, v42, v46
	v_mov_b32_e32 v45, s9
	v_add_co_u32_e32 v46, vcc, s8, v7
	v_addc_co_u32_e32 v88, vcc, v45, v8, vcc
	v_add_co_u32_e32 v45, vcc, v46, v38
	v_addc_co_u32_e32 v46, vcc, 0, v88, vcc
	v_mov_b32_e32 v88, s9
	v_add_co_u32_e32 v89, vcc, s8, v9
	v_addc_co_u32_e32 v88, vcc, v88, v10, vcc
	v_mul_u32_u24_sdwa v52, v55, s34 dst_sel:DWORD dst_unused:UNUSED_PAD src0_sel:WORD_1 src1_sel:DWORD
	v_add_co_u32_e32 v92, vcc, v89, v38
	v_pk_fma_f16 v98, v57, v42, v32
	v_pk_fma_f16 v99, v57, v52, v33
	v_add_u32_e32 v32, 0x3000, v25
	v_add_u32_e32 v33, 0x3800, v25
	v_addc_co_u32_e32 v93, vcc, 0, v88, vcc
	v_pk_fma_f16 v97, v56, v52, v39
	v_pk_fma_f16 v100, v58, v42, v40
	;; [unrolled: 1-line block ×3, first 2 shown]
	ds_read_b128 v[39:42], v1 offset:96
	v_pk_fma_f16 v50, v59, v52, v50
	ds_read2_b64 v[52:55], v32 offset1:32
	ds_read_b128 v[56:59], v1 offset:112
	ds_read2_b64 v[60:63], v32 offset0:64 offset1:96
	ds_read2_b64 v[64:67], v32 offset0:128 offset1:160
	;; [unrolled: 1-line block ×3, first 2 shown]
	ds_read2_b64 v[72:75], v33 offset1:32
	ds_read2_b64 v[76:79], v33 offset0:64 offset1:96
	ds_read2_b64 v[80:83], v33 offset0:128 offset1:160
	;; [unrolled: 1-line block ×3, first 2 shown]
	s_waitcnt lgkmcnt(0)
	s_barrier
	global_load_dwordx4 v[88:91], v[45:46], off
	s_nop 0
	global_load_dwordx4 v[92:95], v[92:93], off
	v_mul_u32_u24_sdwa v103, v39, s34 dst_sel:DWORD dst_unused:UNUSED_PAD src0_sel:WORD_0 src1_sel:DWORD
	v_mul_u32_u24_sdwa v39, v39, s34 dst_sel:DWORD dst_unused:UNUSED_PAD src0_sel:WORD_1 src1_sel:DWORD
	v_pk_fma_f16 v45, v52, v103, v96
	v_pk_fma_f16 v46, v52, v39, v97
	v_pk_fma_f16 v52, v53, v103, v98
	v_pk_fma_f16 v53, v53, v39, v99
	v_pk_fma_f16 v96, v54, v103, v100
	v_pk_fma_f16 v54, v54, v39, v101
	v_pk_fma_f16 v97, v55, v103, v102
	v_pk_fma_f16 v39, v55, v39, v50
	v_mul_u32_u24_sdwa v50, v40, s34 dst_sel:DWORD dst_unused:UNUSED_PAD src0_sel:WORD_0 src1_sel:DWORD
	v_mul_u32_u24_sdwa v40, v40, s34 dst_sel:DWORD dst_unused:UNUSED_PAD src0_sel:WORD_1 src1_sel:DWORD
	v_pk_fma_f16 v45, v60, v50, v45
	v_pk_fma_f16 v46, v60, v40, v46
	v_pk_fma_f16 v52, v61, v50, v52
	v_pk_fma_f16 v53, v61, v40, v53
	v_pk_fma_f16 v55, v62, v50, v96
	v_pk_fma_f16 v54, v62, v40, v54
	v_pk_fma_f16 v50, v63, v50, v97
	v_pk_fma_f16 v39, v63, v40, v39
	;; [unrolled: 10-line block ×8, first 2 shown]
	s_waitcnt vmcnt(1)
	ds_write_b128 v23, v[88:91]
	s_waitcnt vmcnt(0)
	ds_write_b128 v24, v[92:95]
	s_waitcnt lgkmcnt(0)
	s_barrier
	ds_read_b128 v[39:42], v1 offset:128
	ds_read2_b64 v[52:55], v25 offset1:32
	ds_read_b128 v[56:59], v1 offset:144
	ds_read_b128 v[60:63], v1 offset:160
	;; [unrolled: 1-line block ×3, first 2 shown]
	s_waitcnt lgkmcnt(4)
	v_mul_u32_u24_sdwa v74, v39, s34 dst_sel:DWORD dst_unused:UNUSED_PAD src0_sel:WORD_0 src1_sel:DWORD
	v_mul_u32_u24_sdwa v39, v39, s34 dst_sel:DWORD dst_unused:UNUSED_PAD src0_sel:WORD_1 src1_sel:DWORD
	s_waitcnt lgkmcnt(3)
	v_pk_fma_f16 v45, v52, v74, v45
	v_pk_fma_f16 v46, v52, v39, v46
	;; [unrolled: 1-line block ×6, first 2 shown]
	ds_read2_b64 v[68:71], v25 offset0:64 offset1:96
	v_pk_fma_f16 v39, v55, v39, v73
	v_mul_u32_u24_sdwa v73, v40, s34 dst_sel:DWORD dst_unused:UNUSED_PAD src0_sel:WORD_0 src1_sel:DWORD
	v_mul_u32_u24_sdwa v40, v40, s34 dst_sel:DWORD dst_unused:UNUSED_PAD src0_sel:WORD_1 src1_sel:DWORD
	v_pk_fma_f16 v72, v55, v74, v72
	s_waitcnt lgkmcnt(0)
	v_pk_fma_f16 v45, v68, v73, v45
	v_pk_fma_f16 v46, v68, v40, v46
	;; [unrolled: 1-line block ×6, first 2 shown]
	ds_read2_b64 v[52:55], v25 offset0:128 offset1:160
	v_pk_fma_f16 v39, v71, v40, v39
	v_mul_u32_u24_sdwa v40, v41, s34 dst_sel:DWORD dst_unused:UNUSED_PAD src0_sel:WORD_0 src1_sel:DWORD
	v_mul_u32_u24_sdwa v41, v41, s34 dst_sel:DWORD dst_unused:UNUSED_PAD src0_sel:WORD_1 src1_sel:DWORD
	v_pk_fma_f16 v72, v71, v73, v72
	s_waitcnt lgkmcnt(0)
	v_pk_fma_f16 v45, v52, v40, v45
	v_pk_fma_f16 v46, v52, v41, v46
	;; [unrolled: 1-line block ×6, first 2 shown]
	ds_read2_b64 v[68:71], v25 offset0:192 offset1:224
	v_pk_fma_f16 v72, v55, v40, v72
	v_pk_fma_f16 v55, v55, v41, v39
	v_mul_u32_u24_sdwa v73, v42, s34 dst_sel:DWORD dst_unused:UNUSED_PAD src0_sel:WORD_0 src1_sel:DWORD
	v_mul_u32_u24_sdwa v74, v42, s34 dst_sel:DWORD dst_unused:UNUSED_PAD src0_sel:WORD_1 src1_sel:DWORD
	ds_read2_b64 v[39:42], v34 offset1:32
	s_waitcnt lgkmcnt(1)
	v_pk_fma_f16 v45, v68, v73, v45
	v_pk_fma_f16 v46, v68, v74, v46
	;; [unrolled: 1-line block ×6, first 2 shown]
	v_mul_u32_u24_sdwa v70, v56, s34 dst_sel:DWORD dst_unused:UNUSED_PAD src0_sel:WORD_0 src1_sel:DWORD
	v_mul_u32_u24_sdwa v56, v56, s34 dst_sel:DWORD dst_unused:UNUSED_PAD src0_sel:WORD_1 src1_sel:DWORD
	v_pk_fma_f16 v69, v71, v74, v55
	s_waitcnt lgkmcnt(0)
	v_pk_fma_f16 v45, v39, v70, v45
	v_pk_fma_f16 v39, v39, v56, v46
	v_pk_fma_f16 v46, v40, v70, v50
	v_pk_fma_f16 v40, v40, v56, v52
	v_pk_fma_f16 v50, v41, v70, v53
	v_pk_fma_f16 v41, v41, v56, v54
	ds_read2_b64 v[52:55], v34 offset0:64 offset1:96
	v_pk_fma_f16 v68, v71, v73, v72
	v_pk_fma_f16 v56, v42, v56, v69
	v_mul_u32_u24_sdwa v69, v57, s34 dst_sel:DWORD dst_unused:UNUSED_PAD src0_sel:WORD_0 src1_sel:DWORD
	v_mul_u32_u24_sdwa v57, v57, s34 dst_sel:DWORD dst_unused:UNUSED_PAD src0_sel:WORD_1 src1_sel:DWORD
	v_pk_fma_f16 v68, v42, v70, v68
	s_waitcnt lgkmcnt(0)
	v_pk_fma_f16 v45, v52, v69, v45
	v_pk_fma_f16 v52, v52, v57, v39
	;; [unrolled: 1-line block ×6, first 2 shown]
	ds_read2_b64 v[39:42], v34 offset0:128 offset1:160
	v_pk_fma_f16 v56, v55, v57, v56
	v_mul_u32_u24_sdwa v57, v58, s34 dst_sel:DWORD dst_unused:UNUSED_PAD src0_sel:WORD_0 src1_sel:DWORD
	v_mul_u32_u24_sdwa v58, v58, s34 dst_sel:DWORD dst_unused:UNUSED_PAD src0_sel:WORD_1 src1_sel:DWORD
	v_pk_fma_f16 v68, v55, v69, v68
	s_waitcnt lgkmcnt(0)
	v_pk_fma_f16 v45, v39, v57, v45
	v_pk_fma_f16 v39, v39, v58, v52
	;; [unrolled: 1-line block ×6, first 2 shown]
	ds_read2_b64 v[52:55], v34 offset0:192 offset1:224
	v_pk_fma_f16 v56, v42, v58, v56
	v_mul_u32_u24_sdwa v58, v59, s34 dst_sel:DWORD dst_unused:UNUSED_PAD src0_sel:WORD_0 src1_sel:DWORD
	v_mul_u32_u24_sdwa v59, v59, s34 dst_sel:DWORD dst_unused:UNUSED_PAD src0_sel:WORD_1 src1_sel:DWORD
	v_pk_fma_f16 v57, v42, v57, v68
	s_waitcnt lgkmcnt(0)
	v_pk_fma_f16 v45, v52, v58, v45
	v_pk_fma_f16 v52, v52, v59, v39
	;; [unrolled: 1-line block ×6, first 2 shown]
	ds_read2_b64 v[39:42], v35 offset1:32
	v_pk_fma_f16 v57, v55, v58, v57
	v_pk_fma_f16 v56, v55, v59, v56
	v_mul_u32_u24_sdwa v58, v60, s34 dst_sel:DWORD dst_unused:UNUSED_PAD src0_sel:WORD_0 src1_sel:DWORD
	v_mul_u32_u24_sdwa v59, v60, s34 dst_sel:DWORD dst_unused:UNUSED_PAD src0_sel:WORD_1 src1_sel:DWORD
	s_waitcnt lgkmcnt(0)
	v_pk_fma_f16 v45, v39, v58, v45
	v_pk_fma_f16 v39, v39, v59, v52
	v_pk_fma_f16 v46, v40, v58, v46
	v_pk_fma_f16 v40, v40, v59, v53
	v_pk_fma_f16 v50, v41, v58, v50
	v_pk_fma_f16 v41, v41, v59, v54
	ds_read2_b64 v[52:55], v35 offset0:64 offset1:96
	v_pk_fma_f16 v57, v42, v58, v57
	v_pk_fma_f16 v56, v42, v59, v56
	v_mul_u32_u24_sdwa v58, v61, s34 dst_sel:DWORD dst_unused:UNUSED_PAD src0_sel:WORD_0 src1_sel:DWORD
	v_mul_u32_u24_sdwa v59, v61, s34 dst_sel:DWORD dst_unused:UNUSED_PAD src0_sel:WORD_1 src1_sel:DWORD
	s_waitcnt lgkmcnt(0)
	v_pk_fma_f16 v45, v52, v58, v45
	v_pk_fma_f16 v52, v52, v59, v39
	v_pk_fma_f16 v46, v53, v58, v46
	v_pk_fma_f16 v53, v53, v59, v40
	v_pk_fma_f16 v50, v54, v58, v50
	v_pk_fma_f16 v54, v54, v59, v41
	ds_read2_b64 v[39:42], v35 offset0:128 offset1:160
	;; [unrolled: 12-line block ×3, first 2 shown]
	v_pk_fma_f16 v57, v42, v58, v57
	v_pk_fma_f16 v56, v42, v59, v56
	v_mul_u32_u24_sdwa v58, v63, s34 dst_sel:DWORD dst_unused:UNUSED_PAD src0_sel:WORD_0 src1_sel:DWORD
	v_mul_u32_u24_sdwa v59, v63, s34 dst_sel:DWORD dst_unused:UNUSED_PAD src0_sel:WORD_1 src1_sel:DWORD
	s_waitcnt lgkmcnt(0)
	v_pk_fma_f16 v45, v52, v58, v45
	v_pk_fma_f16 v52, v52, v59, v39
	;; [unrolled: 1-line block ×6, first 2 shown]
	ds_read2_b64 v[39:42], v36 offset1:32
	v_pk_fma_f16 v57, v55, v58, v57
	v_pk_fma_f16 v56, v55, v59, v56
	v_mul_u32_u24_sdwa v58, v64, s34 dst_sel:DWORD dst_unused:UNUSED_PAD src0_sel:WORD_0 src1_sel:DWORD
	v_mul_u32_u24_sdwa v59, v64, s34 dst_sel:DWORD dst_unused:UNUSED_PAD src0_sel:WORD_1 src1_sel:DWORD
	s_waitcnt lgkmcnt(0)
	v_pk_fma_f16 v45, v39, v58, v45
	v_pk_fma_f16 v39, v39, v59, v52
	v_pk_fma_f16 v46, v40, v58, v46
	v_pk_fma_f16 v40, v40, v59, v53
	v_pk_fma_f16 v50, v41, v58, v50
	v_pk_fma_f16 v41, v41, v59, v54
	ds_read2_b64 v[52:55], v36 offset0:64 offset1:96
	v_pk_fma_f16 v57, v42, v58, v57
	v_pk_fma_f16 v56, v42, v59, v56
	v_mul_u32_u24_sdwa v58, v65, s34 dst_sel:DWORD dst_unused:UNUSED_PAD src0_sel:WORD_0 src1_sel:DWORD
	v_mul_u32_u24_sdwa v59, v65, s34 dst_sel:DWORD dst_unused:UNUSED_PAD src0_sel:WORD_1 src1_sel:DWORD
	s_waitcnt lgkmcnt(0)
	v_pk_fma_f16 v45, v52, v58, v45
	v_pk_fma_f16 v52, v52, v59, v39
	v_pk_fma_f16 v46, v53, v58, v46
	v_pk_fma_f16 v53, v53, v59, v40
	v_pk_fma_f16 v50, v54, v58, v50
	v_pk_fma_f16 v54, v54, v59, v41
	ds_read2_b64 v[39:42], v36 offset0:128 offset1:160
	;; [unrolled: 12-line block ×3, first 2 shown]
	v_mul_u32_u24_sdwa v61, v67, s34 dst_sel:DWORD dst_unused:UNUSED_PAD src0_sel:WORD_1 src1_sel:DWORD
	v_pk_fma_f16 v57, v42, v58, v57
	v_pk_fma_f16 v60, v42, v59, v56
	v_mul_u32_u24_sdwa v56, v67, s34 dst_sel:DWORD dst_unused:UNUSED_PAD src0_sel:WORD_0 src1_sel:DWORD
	s_waitcnt lgkmcnt(0)
	v_pk_fma_f16 v62, v52, v61, v39
	v_pk_fma_f16 v63, v53, v61, v40
	;; [unrolled: 1-line block ×3, first 2 shown]
	ds_read_b128 v[39:42], v1 offset:192
	v_pk_fma_f16 v45, v52, v56, v45
	v_pk_fma_f16 v46, v53, v56, v46
	;; [unrolled: 1-line block ×4, first 2 shown]
	ds_read2_b64 v[56:59], v31 offset1:32
	v_pk_fma_f16 v66, v55, v61, v60
	ds_read_b128 v[52:55], v1 offset:208
	s_waitcnt lgkmcnt(2)
	v_mul_u32_u24_sdwa v67, v39, s34 dst_sel:DWORD dst_unused:UNUSED_PAD src0_sel:WORD_0 src1_sel:DWORD
	v_mul_u32_u24_sdwa v39, v39, s34 dst_sel:DWORD dst_unused:UNUSED_PAD src0_sel:WORD_1 src1_sel:DWORD
	s_waitcnt lgkmcnt(1)
	v_pk_fma_f16 v45, v56, v67, v45
	v_pk_fma_f16 v56, v56, v39, v62
	;; [unrolled: 1-line block ×4, first 2 shown]
	ds_read2_b64 v[60:63], v31 offset0:64 offset1:96
	v_pk_fma_f16 v50, v58, v67, v50
	v_pk_fma_f16 v58, v58, v39, v64
	;; [unrolled: 1-line block ×3, first 2 shown]
	v_mul_u32_u24_sdwa v65, v40, s34 dst_sel:DWORD dst_unused:UNUSED_PAD src0_sel:WORD_0 src1_sel:DWORD
	v_mul_u32_u24_sdwa v40, v40, s34 dst_sel:DWORD dst_unused:UNUSED_PAD src0_sel:WORD_1 src1_sel:DWORD
	v_pk_fma_f16 v39, v59, v39, v66
	s_waitcnt lgkmcnt(0)
	v_pk_fma_f16 v45, v60, v65, v45
	v_pk_fma_f16 v60, v60, v40, v56
	;; [unrolled: 1-line block ×6, first 2 shown]
	ds_read2_b64 v[56:59], v31 offset0:128 offset1:160
	v_pk_fma_f16 v39, v63, v40, v39
	v_mul_u32_u24_sdwa v40, v41, s34 dst_sel:DWORD dst_unused:UNUSED_PAD src0_sel:WORD_0 src1_sel:DWORD
	v_mul_u32_u24_sdwa v41, v41, s34 dst_sel:DWORD dst_unused:UNUSED_PAD src0_sel:WORD_1 src1_sel:DWORD
	v_pk_fma_f16 v64, v63, v65, v64
	s_waitcnt lgkmcnt(0)
	v_pk_fma_f16 v45, v56, v40, v45
	v_pk_fma_f16 v56, v56, v41, v60
	;; [unrolled: 1-line block ×6, first 2 shown]
	ds_read2_b64 v[60:63], v31 offset0:192 offset1:224
	v_pk_fma_f16 v64, v59, v40, v64
	v_pk_fma_f16 v59, v59, v41, v39
	v_mul_u32_u24_sdwa v65, v42, s34 dst_sel:DWORD dst_unused:UNUSED_PAD src0_sel:WORD_0 src1_sel:DWORD
	v_mul_u32_u24_sdwa v66, v42, s34 dst_sel:DWORD dst_unused:UNUSED_PAD src0_sel:WORD_1 src1_sel:DWORD
	ds_read2_b64 v[39:42], v37 offset1:32
	s_waitcnt lgkmcnt(1)
	v_pk_fma_f16 v45, v60, v65, v45
	v_pk_fma_f16 v56, v60, v66, v56
	;; [unrolled: 1-line block ×6, first 2 shown]
	v_mul_u32_u24_sdwa v62, v52, s34 dst_sel:DWORD dst_unused:UNUSED_PAD src0_sel:WORD_0 src1_sel:DWORD
	v_mul_u32_u24_sdwa v52, v52, s34 dst_sel:DWORD dst_unused:UNUSED_PAD src0_sel:WORD_1 src1_sel:DWORD
	v_pk_fma_f16 v61, v63, v66, v59
	s_waitcnt lgkmcnt(0)
	v_pk_fma_f16 v45, v39, v62, v45
	v_pk_fma_f16 v39, v39, v52, v56
	;; [unrolled: 1-line block ×6, first 2 shown]
	ds_read2_b64 v[56:59], v37 offset0:64 offset1:96
	v_pk_fma_f16 v60, v63, v65, v64
	v_pk_fma_f16 v52, v42, v52, v61
	v_mul_u32_u24_sdwa v61, v53, s34 dst_sel:DWORD dst_unused:UNUSED_PAD src0_sel:WORD_0 src1_sel:DWORD
	v_mul_u32_u24_sdwa v53, v53, s34 dst_sel:DWORD dst_unused:UNUSED_PAD src0_sel:WORD_1 src1_sel:DWORD
	v_pk_fma_f16 v60, v42, v62, v60
	s_waitcnt lgkmcnt(0)
	v_pk_fma_f16 v45, v56, v61, v45
	v_pk_fma_f16 v56, v56, v53, v39
	;; [unrolled: 1-line block ×6, first 2 shown]
	ds_read2_b64 v[39:42], v37 offset0:128 offset1:160
	v_pk_fma_f16 v52, v59, v53, v52
	v_mul_u32_u24_sdwa v53, v54, s34 dst_sel:DWORD dst_unused:UNUSED_PAD src0_sel:WORD_0 src1_sel:DWORD
	v_mul_u32_u24_sdwa v54, v54, s34 dst_sel:DWORD dst_unused:UNUSED_PAD src0_sel:WORD_1 src1_sel:DWORD
	v_pk_fma_f16 v60, v59, v61, v60
	s_waitcnt lgkmcnt(0)
	v_pk_fma_f16 v45, v39, v53, v45
	v_pk_fma_f16 v39, v39, v54, v56
	;; [unrolled: 1-line block ×6, first 2 shown]
	ds_read2_b64 v[56:59], v37 offset0:192 offset1:224
	s_or_b32 s8, s6, 64
	s_mul_hi_i32 s9, s8, s15
	s_mul_i32 s8, s8, s15
	s_lshl_b64 s[8:9], s[8:9], 2
	s_add_u32 s8, s12, s8
	v_pk_fma_f16 v52, v42, v54, v52
	v_mul_u32_u24_sdwa v54, v55, s34 dst_sel:DWORD dst_unused:UNUSED_PAD src0_sel:WORD_0 src1_sel:DWORD
	s_addc_u32 s9, s13, s9
	s_waitcnt lgkmcnt(0)
	v_pk_fma_f16 v96, v56, v54, v45
	v_pk_fma_f16 v98, v57, v54, v46
	v_mov_b32_e32 v45, s9
	v_add_co_u32_e32 v46, vcc, s8, v7
	v_addc_co_u32_e32 v88, vcc, v45, v8, vcc
	v_add_co_u32_e32 v45, vcc, v46, v38
	v_addc_co_u32_e32 v46, vcc, 0, v88, vcc
	v_mov_b32_e32 v88, s9
	v_add_co_u32_e32 v89, vcc, s8, v9
	v_addc_co_u32_e32 v88, vcc, v88, v10, vcc
	v_add_co_u32_e32 v92, vcc, v89, v38
	v_pk_fma_f16 v53, v42, v53, v60
	v_mul_u32_u24_sdwa v55, v55, s34 dst_sel:DWORD dst_unused:UNUSED_PAD src0_sel:WORD_1 src1_sel:DWORD
	v_addc_co_u32_e32 v93, vcc, 0, v88, vcc
	v_pk_fma_f16 v97, v56, v55, v39
	v_pk_fma_f16 v99, v57, v55, v40
	;; [unrolled: 1-line block ×4, first 2 shown]
	ds_read_b128 v[39:42], v1 offset:224
	v_pk_fma_f16 v101, v59, v54, v53
	v_pk_fma_f16 v102, v59, v55, v52
	ds_read2_b64 v[52:55], v32 offset1:32
	ds_read_b128 v[56:59], v1 offset:240
	ds_read2_b64 v[60:63], v32 offset0:64 offset1:96
	ds_read2_b64 v[64:67], v32 offset0:128 offset1:160
	;; [unrolled: 1-line block ×3, first 2 shown]
	ds_read2_b64 v[72:75], v33 offset1:32
	ds_read2_b64 v[76:79], v33 offset0:64 offset1:96
	ds_read2_b64 v[80:83], v33 offset0:128 offset1:160
	;; [unrolled: 1-line block ×3, first 2 shown]
	s_waitcnt lgkmcnt(0)
	s_barrier
	global_load_dwordx4 v[88:91], v[45:46], off
	s_nop 0
	global_load_dwordx4 v[92:95], v[92:93], off
	v_mul_u32_u24_sdwa v103, v39, s34 dst_sel:DWORD dst_unused:UNUSED_PAD src0_sel:WORD_0 src1_sel:DWORD
	v_mul_u32_u24_sdwa v39, v39, s34 dst_sel:DWORD dst_unused:UNUSED_PAD src0_sel:WORD_1 src1_sel:DWORD
	v_pk_fma_f16 v45, v52, v103, v96
	v_pk_fma_f16 v46, v52, v39, v97
	v_pk_fma_f16 v52, v53, v103, v98
	v_pk_fma_f16 v53, v53, v39, v99
	v_pk_fma_f16 v50, v54, v103, v50
	v_pk_fma_f16 v54, v54, v39, v100
	v_pk_fma_f16 v96, v55, v103, v101
	v_pk_fma_f16 v39, v55, v39, v102
	v_mul_u32_u24_sdwa v55, v40, s34 dst_sel:DWORD dst_unused:UNUSED_PAD src0_sel:WORD_0 src1_sel:DWORD
	v_mul_u32_u24_sdwa v40, v40, s34 dst_sel:DWORD dst_unused:UNUSED_PAD src0_sel:WORD_1 src1_sel:DWORD
	v_pk_fma_f16 v45, v60, v55, v45
	v_pk_fma_f16 v46, v60, v40, v46
	v_pk_fma_f16 v52, v61, v55, v52
	v_pk_fma_f16 v53, v61, v40, v53
	v_pk_fma_f16 v50, v62, v55, v50
	v_pk_fma_f16 v54, v62, v40, v54
	v_pk_fma_f16 v55, v63, v55, v96
	v_pk_fma_f16 v39, v63, v40, v39
	;; [unrolled: 10-line block ×8, first 2 shown]
	s_waitcnt vmcnt(1)
	ds_write_b128 v23, v[88:91]
	s_waitcnt vmcnt(0)
	ds_write_b128 v24, v[92:95]
	s_waitcnt lgkmcnt(0)
	s_barrier
	ds_read_b128 v[39:42], v1 offset:256
	ds_read2_b64 v[52:55], v25 offset1:32
	ds_read_b128 v[56:59], v1 offset:272
	ds_read_b128 v[60:63], v1 offset:288
	;; [unrolled: 1-line block ×3, first 2 shown]
	s_waitcnt lgkmcnt(4)
	v_mul_u32_u24_sdwa v74, v39, s34 dst_sel:DWORD dst_unused:UNUSED_PAD src0_sel:WORD_0 src1_sel:DWORD
	v_mul_u32_u24_sdwa v39, v39, s34 dst_sel:DWORD dst_unused:UNUSED_PAD src0_sel:WORD_1 src1_sel:DWORD
	s_waitcnt lgkmcnt(3)
	v_pk_fma_f16 v45, v52, v74, v45
	v_pk_fma_f16 v46, v52, v39, v46
	;; [unrolled: 1-line block ×6, first 2 shown]
	ds_read2_b64 v[68:71], v25 offset0:64 offset1:96
	v_pk_fma_f16 v39, v55, v39, v73
	v_mul_u32_u24_sdwa v73, v40, s34 dst_sel:DWORD dst_unused:UNUSED_PAD src0_sel:WORD_0 src1_sel:DWORD
	v_mul_u32_u24_sdwa v40, v40, s34 dst_sel:DWORD dst_unused:UNUSED_PAD src0_sel:WORD_1 src1_sel:DWORD
	v_pk_fma_f16 v72, v55, v74, v72
	s_waitcnt lgkmcnt(0)
	v_pk_fma_f16 v45, v68, v73, v45
	v_pk_fma_f16 v46, v68, v40, v46
	;; [unrolled: 1-line block ×6, first 2 shown]
	ds_read2_b64 v[52:55], v25 offset0:128 offset1:160
	v_pk_fma_f16 v39, v71, v40, v39
	v_mul_u32_u24_sdwa v40, v41, s34 dst_sel:DWORD dst_unused:UNUSED_PAD src0_sel:WORD_0 src1_sel:DWORD
	v_mul_u32_u24_sdwa v41, v41, s34 dst_sel:DWORD dst_unused:UNUSED_PAD src0_sel:WORD_1 src1_sel:DWORD
	v_pk_fma_f16 v72, v71, v73, v72
	s_waitcnt lgkmcnt(0)
	v_pk_fma_f16 v45, v52, v40, v45
	v_pk_fma_f16 v46, v52, v41, v46
	;; [unrolled: 1-line block ×6, first 2 shown]
	ds_read2_b64 v[68:71], v25 offset0:192 offset1:224
	v_pk_fma_f16 v72, v55, v40, v72
	v_pk_fma_f16 v55, v55, v41, v39
	v_mul_u32_u24_sdwa v73, v42, s34 dst_sel:DWORD dst_unused:UNUSED_PAD src0_sel:WORD_0 src1_sel:DWORD
	v_mul_u32_u24_sdwa v74, v42, s34 dst_sel:DWORD dst_unused:UNUSED_PAD src0_sel:WORD_1 src1_sel:DWORD
	ds_read2_b64 v[39:42], v34 offset1:32
	s_waitcnt lgkmcnt(1)
	v_pk_fma_f16 v45, v68, v73, v45
	v_pk_fma_f16 v46, v68, v74, v46
	;; [unrolled: 1-line block ×6, first 2 shown]
	v_mul_u32_u24_sdwa v70, v56, s34 dst_sel:DWORD dst_unused:UNUSED_PAD src0_sel:WORD_0 src1_sel:DWORD
	v_mul_u32_u24_sdwa v56, v56, s34 dst_sel:DWORD dst_unused:UNUSED_PAD src0_sel:WORD_1 src1_sel:DWORD
	v_pk_fma_f16 v69, v71, v74, v55
	s_waitcnt lgkmcnt(0)
	v_pk_fma_f16 v45, v39, v70, v45
	v_pk_fma_f16 v39, v39, v56, v46
	;; [unrolled: 1-line block ×6, first 2 shown]
	ds_read2_b64 v[52:55], v34 offset0:64 offset1:96
	v_pk_fma_f16 v68, v71, v73, v72
	v_pk_fma_f16 v56, v42, v56, v69
	v_mul_u32_u24_sdwa v69, v57, s34 dst_sel:DWORD dst_unused:UNUSED_PAD src0_sel:WORD_0 src1_sel:DWORD
	v_mul_u32_u24_sdwa v57, v57, s34 dst_sel:DWORD dst_unused:UNUSED_PAD src0_sel:WORD_1 src1_sel:DWORD
	v_pk_fma_f16 v68, v42, v70, v68
	s_waitcnt lgkmcnt(0)
	v_pk_fma_f16 v45, v52, v69, v45
	v_pk_fma_f16 v52, v52, v57, v39
	;; [unrolled: 1-line block ×6, first 2 shown]
	ds_read2_b64 v[39:42], v34 offset0:128 offset1:160
	v_pk_fma_f16 v56, v55, v57, v56
	v_mul_u32_u24_sdwa v57, v58, s34 dst_sel:DWORD dst_unused:UNUSED_PAD src0_sel:WORD_0 src1_sel:DWORD
	v_mul_u32_u24_sdwa v58, v58, s34 dst_sel:DWORD dst_unused:UNUSED_PAD src0_sel:WORD_1 src1_sel:DWORD
	v_pk_fma_f16 v68, v55, v69, v68
	s_waitcnt lgkmcnt(0)
	v_pk_fma_f16 v45, v39, v57, v45
	v_pk_fma_f16 v39, v39, v58, v52
	;; [unrolled: 1-line block ×6, first 2 shown]
	ds_read2_b64 v[52:55], v34 offset0:192 offset1:224
	v_pk_fma_f16 v56, v42, v58, v56
	v_mul_u32_u24_sdwa v58, v59, s34 dst_sel:DWORD dst_unused:UNUSED_PAD src0_sel:WORD_0 src1_sel:DWORD
	v_mul_u32_u24_sdwa v59, v59, s34 dst_sel:DWORD dst_unused:UNUSED_PAD src0_sel:WORD_1 src1_sel:DWORD
	v_pk_fma_f16 v57, v42, v57, v68
	s_waitcnt lgkmcnt(0)
	v_pk_fma_f16 v45, v52, v58, v45
	v_pk_fma_f16 v52, v52, v59, v39
	;; [unrolled: 1-line block ×6, first 2 shown]
	ds_read2_b64 v[39:42], v35 offset1:32
	v_pk_fma_f16 v57, v55, v58, v57
	v_pk_fma_f16 v56, v55, v59, v56
	v_mul_u32_u24_sdwa v58, v60, s34 dst_sel:DWORD dst_unused:UNUSED_PAD src0_sel:WORD_0 src1_sel:DWORD
	v_mul_u32_u24_sdwa v59, v60, s34 dst_sel:DWORD dst_unused:UNUSED_PAD src0_sel:WORD_1 src1_sel:DWORD
	s_waitcnt lgkmcnt(0)
	v_pk_fma_f16 v45, v39, v58, v45
	v_pk_fma_f16 v39, v39, v59, v52
	v_pk_fma_f16 v46, v40, v58, v46
	v_pk_fma_f16 v40, v40, v59, v53
	v_pk_fma_f16 v50, v41, v58, v50
	v_pk_fma_f16 v41, v41, v59, v54
	ds_read2_b64 v[52:55], v35 offset0:64 offset1:96
	v_pk_fma_f16 v57, v42, v58, v57
	v_pk_fma_f16 v56, v42, v59, v56
	v_mul_u32_u24_sdwa v58, v61, s34 dst_sel:DWORD dst_unused:UNUSED_PAD src0_sel:WORD_0 src1_sel:DWORD
	v_mul_u32_u24_sdwa v59, v61, s34 dst_sel:DWORD dst_unused:UNUSED_PAD src0_sel:WORD_1 src1_sel:DWORD
	s_waitcnt lgkmcnt(0)
	v_pk_fma_f16 v45, v52, v58, v45
	v_pk_fma_f16 v52, v52, v59, v39
	v_pk_fma_f16 v46, v53, v58, v46
	v_pk_fma_f16 v53, v53, v59, v40
	v_pk_fma_f16 v50, v54, v58, v50
	v_pk_fma_f16 v54, v54, v59, v41
	ds_read2_b64 v[39:42], v35 offset0:128 offset1:160
	;; [unrolled: 12-line block ×3, first 2 shown]
	v_pk_fma_f16 v57, v42, v58, v57
	v_pk_fma_f16 v56, v42, v59, v56
	v_mul_u32_u24_sdwa v58, v63, s34 dst_sel:DWORD dst_unused:UNUSED_PAD src0_sel:WORD_0 src1_sel:DWORD
	v_mul_u32_u24_sdwa v59, v63, s34 dst_sel:DWORD dst_unused:UNUSED_PAD src0_sel:WORD_1 src1_sel:DWORD
	s_waitcnt lgkmcnt(0)
	v_pk_fma_f16 v45, v52, v58, v45
	v_pk_fma_f16 v52, v52, v59, v39
	;; [unrolled: 1-line block ×6, first 2 shown]
	ds_read2_b64 v[39:42], v36 offset1:32
	v_pk_fma_f16 v57, v55, v58, v57
	v_pk_fma_f16 v56, v55, v59, v56
	v_mul_u32_u24_sdwa v58, v64, s34 dst_sel:DWORD dst_unused:UNUSED_PAD src0_sel:WORD_0 src1_sel:DWORD
	v_mul_u32_u24_sdwa v59, v64, s34 dst_sel:DWORD dst_unused:UNUSED_PAD src0_sel:WORD_1 src1_sel:DWORD
	s_waitcnt lgkmcnt(0)
	v_pk_fma_f16 v45, v39, v58, v45
	v_pk_fma_f16 v39, v39, v59, v52
	v_pk_fma_f16 v46, v40, v58, v46
	v_pk_fma_f16 v40, v40, v59, v53
	v_pk_fma_f16 v50, v41, v58, v50
	v_pk_fma_f16 v41, v41, v59, v54
	ds_read2_b64 v[52:55], v36 offset0:64 offset1:96
	v_pk_fma_f16 v57, v42, v58, v57
	v_pk_fma_f16 v56, v42, v59, v56
	v_mul_u32_u24_sdwa v58, v65, s34 dst_sel:DWORD dst_unused:UNUSED_PAD src0_sel:WORD_0 src1_sel:DWORD
	v_mul_u32_u24_sdwa v59, v65, s34 dst_sel:DWORD dst_unused:UNUSED_PAD src0_sel:WORD_1 src1_sel:DWORD
	s_waitcnt lgkmcnt(0)
	v_pk_fma_f16 v45, v52, v58, v45
	v_pk_fma_f16 v52, v52, v59, v39
	v_pk_fma_f16 v46, v53, v58, v46
	v_pk_fma_f16 v53, v53, v59, v40
	v_pk_fma_f16 v50, v54, v58, v50
	v_pk_fma_f16 v54, v54, v59, v41
	ds_read2_b64 v[39:42], v36 offset0:128 offset1:160
	;; [unrolled: 12-line block ×3, first 2 shown]
	v_mul_u32_u24_sdwa v61, v67, s34 dst_sel:DWORD dst_unused:UNUSED_PAD src0_sel:WORD_1 src1_sel:DWORD
	v_pk_fma_f16 v57, v42, v58, v57
	v_pk_fma_f16 v60, v42, v59, v56
	v_mul_u32_u24_sdwa v56, v67, s34 dst_sel:DWORD dst_unused:UNUSED_PAD src0_sel:WORD_0 src1_sel:DWORD
	s_waitcnt lgkmcnt(0)
	v_pk_fma_f16 v62, v52, v61, v39
	v_pk_fma_f16 v63, v53, v61, v40
	;; [unrolled: 1-line block ×3, first 2 shown]
	ds_read_b128 v[39:42], v1 offset:320
	v_pk_fma_f16 v45, v52, v56, v45
	v_pk_fma_f16 v46, v53, v56, v46
	;; [unrolled: 1-line block ×4, first 2 shown]
	ds_read2_b64 v[56:59], v31 offset1:32
	v_pk_fma_f16 v66, v55, v61, v60
	ds_read_b128 v[52:55], v1 offset:336
	s_waitcnt lgkmcnt(2)
	v_mul_u32_u24_sdwa v67, v39, s34 dst_sel:DWORD dst_unused:UNUSED_PAD src0_sel:WORD_0 src1_sel:DWORD
	v_mul_u32_u24_sdwa v39, v39, s34 dst_sel:DWORD dst_unused:UNUSED_PAD src0_sel:WORD_1 src1_sel:DWORD
	s_waitcnt lgkmcnt(1)
	v_pk_fma_f16 v45, v56, v67, v45
	v_pk_fma_f16 v56, v56, v39, v62
	;; [unrolled: 1-line block ×4, first 2 shown]
	ds_read2_b64 v[60:63], v31 offset0:64 offset1:96
	v_pk_fma_f16 v50, v58, v67, v50
	v_pk_fma_f16 v58, v58, v39, v64
	;; [unrolled: 1-line block ×3, first 2 shown]
	v_mul_u32_u24_sdwa v65, v40, s34 dst_sel:DWORD dst_unused:UNUSED_PAD src0_sel:WORD_0 src1_sel:DWORD
	v_mul_u32_u24_sdwa v40, v40, s34 dst_sel:DWORD dst_unused:UNUSED_PAD src0_sel:WORD_1 src1_sel:DWORD
	v_pk_fma_f16 v39, v59, v39, v66
	s_waitcnt lgkmcnt(0)
	v_pk_fma_f16 v45, v60, v65, v45
	v_pk_fma_f16 v60, v60, v40, v56
	;; [unrolled: 1-line block ×6, first 2 shown]
	ds_read2_b64 v[56:59], v31 offset0:128 offset1:160
	v_pk_fma_f16 v39, v63, v40, v39
	v_mul_u32_u24_sdwa v40, v41, s34 dst_sel:DWORD dst_unused:UNUSED_PAD src0_sel:WORD_0 src1_sel:DWORD
	v_mul_u32_u24_sdwa v41, v41, s34 dst_sel:DWORD dst_unused:UNUSED_PAD src0_sel:WORD_1 src1_sel:DWORD
	v_pk_fma_f16 v64, v63, v65, v64
	s_waitcnt lgkmcnt(0)
	v_pk_fma_f16 v45, v56, v40, v45
	v_pk_fma_f16 v56, v56, v41, v60
	;; [unrolled: 1-line block ×6, first 2 shown]
	ds_read2_b64 v[60:63], v31 offset0:192 offset1:224
	v_pk_fma_f16 v64, v59, v40, v64
	v_pk_fma_f16 v59, v59, v41, v39
	v_mul_u32_u24_sdwa v65, v42, s34 dst_sel:DWORD dst_unused:UNUSED_PAD src0_sel:WORD_0 src1_sel:DWORD
	v_mul_u32_u24_sdwa v66, v42, s34 dst_sel:DWORD dst_unused:UNUSED_PAD src0_sel:WORD_1 src1_sel:DWORD
	ds_read2_b64 v[39:42], v37 offset1:32
	s_waitcnt lgkmcnt(1)
	v_pk_fma_f16 v45, v60, v65, v45
	v_pk_fma_f16 v56, v60, v66, v56
	;; [unrolled: 1-line block ×6, first 2 shown]
	v_mul_u32_u24_sdwa v62, v52, s34 dst_sel:DWORD dst_unused:UNUSED_PAD src0_sel:WORD_0 src1_sel:DWORD
	v_mul_u32_u24_sdwa v52, v52, s34 dst_sel:DWORD dst_unused:UNUSED_PAD src0_sel:WORD_1 src1_sel:DWORD
	v_pk_fma_f16 v61, v63, v66, v59
	s_waitcnt lgkmcnt(0)
	v_pk_fma_f16 v45, v39, v62, v45
	v_pk_fma_f16 v39, v39, v52, v56
	;; [unrolled: 1-line block ×6, first 2 shown]
	ds_read2_b64 v[56:59], v37 offset0:64 offset1:96
	v_pk_fma_f16 v60, v63, v65, v64
	v_pk_fma_f16 v52, v42, v52, v61
	v_mul_u32_u24_sdwa v61, v53, s34 dst_sel:DWORD dst_unused:UNUSED_PAD src0_sel:WORD_0 src1_sel:DWORD
	v_mul_u32_u24_sdwa v53, v53, s34 dst_sel:DWORD dst_unused:UNUSED_PAD src0_sel:WORD_1 src1_sel:DWORD
	v_pk_fma_f16 v60, v42, v62, v60
	s_waitcnt lgkmcnt(0)
	v_pk_fma_f16 v45, v56, v61, v45
	v_pk_fma_f16 v56, v56, v53, v39
	;; [unrolled: 1-line block ×6, first 2 shown]
	ds_read2_b64 v[39:42], v37 offset0:128 offset1:160
	v_pk_fma_f16 v52, v59, v53, v52
	v_mul_u32_u24_sdwa v53, v54, s34 dst_sel:DWORD dst_unused:UNUSED_PAD src0_sel:WORD_0 src1_sel:DWORD
	v_mul_u32_u24_sdwa v54, v54, s34 dst_sel:DWORD dst_unused:UNUSED_PAD src0_sel:WORD_1 src1_sel:DWORD
	v_pk_fma_f16 v60, v59, v61, v60
	s_waitcnt lgkmcnt(0)
	v_pk_fma_f16 v45, v39, v53, v45
	v_pk_fma_f16 v39, v39, v54, v56
	;; [unrolled: 1-line block ×6, first 2 shown]
	ds_read2_b64 v[56:59], v37 offset0:192 offset1:224
	v_pk_fma_f16 v52, v42, v54, v52
	v_mul_u32_u24_sdwa v54, v55, s34 dst_sel:DWORD dst_unused:UNUSED_PAD src0_sel:WORD_0 src1_sel:DWORD
	v_mul_u32_u24_sdwa v55, v55, s34 dst_sel:DWORD dst_unused:UNUSED_PAD src0_sel:WORD_1 src1_sel:DWORD
	v_pk_fma_f16 v53, v42, v53, v60
	s_waitcnt lgkmcnt(0)
	v_pk_fma_f16 v97, v56, v55, v39
	v_pk_fma_f16 v99, v57, v55, v40
	;; [unrolled: 1-line block ×3, first 2 shown]
	ds_read_b128 v[39:42], v1 offset:352
	s_or_b32 s8, s6, 0x60
	s_mul_hi_i32 s9, s8, s15
	s_mul_i32 s8, s8, s15
	s_lshl_b64 s[8:9], s[8:9], 2
	s_add_u32 s8, s12, s8
	s_addc_u32 s9, s13, s9
	v_pk_fma_f16 v96, v56, v54, v45
	s_waitcnt lgkmcnt(0)
	v_mul_u32_u24_sdwa v103, v39, s34 dst_sel:DWORD dst_unused:UNUSED_PAD src0_sel:WORD_0 src1_sel:DWORD
	v_mul_u32_u24_sdwa v104, v39, s34 dst_sel:DWORD dst_unused:UNUSED_PAD src0_sel:WORD_1 src1_sel:DWORD
	v_mov_b32_e32 v39, s9
	v_add_co_u32_e32 v45, vcc, s8, v7
	v_addc_co_u32_e32 v39, vcc, v39, v8, vcc
	v_add_co_u32_e32 v45, vcc, v45, v38
	v_pk_fma_f16 v98, v57, v54, v46
	v_addc_co_u32_e32 v46, vcc, 0, v39, vcc
	v_mov_b32_e32 v39, s9
	v_add_co_u32_e32 v88, vcc, s8, v9
	v_addc_co_u32_e32 v39, vcc, v39, v10, vcc
	v_add_co_u32_e32 v38, vcc, v88, v38
	v_pk_fma_f16 v50, v58, v54, v50
	v_pk_fma_f16 v101, v59, v54, v53
	;; [unrolled: 1-line block ×3, first 2 shown]
	ds_read2_b64 v[52:55], v32 offset1:32
	ds_read_b128 v[56:59], v1 offset:368
	ds_read2_b64 v[60:63], v32 offset0:64 offset1:96
	ds_read2_b64 v[64:67], v32 offset0:128 offset1:160
	;; [unrolled: 1-line block ×3, first 2 shown]
	ds_read2_b64 v[72:75], v33 offset1:32
	ds_read2_b64 v[76:79], v33 offset0:64 offset1:96
	ds_read2_b64 v[80:83], v33 offset0:128 offset1:160
	;; [unrolled: 1-line block ×3, first 2 shown]
	s_waitcnt lgkmcnt(0)
	s_barrier
	v_addc_co_u32_e32 v39, vcc, 0, v39, vcc
	global_load_dwordx4 v[88:91], v[45:46], off
	global_load_dwordx4 v[92:95], v[38:39], off
	v_pk_fma_f16 v38, v52, v103, v96
	v_pk_fma_f16 v39, v52, v104, v97
	v_pk_fma_f16 v45, v53, v103, v98
	v_pk_fma_f16 v46, v53, v104, v99
	v_pk_fma_f16 v50, v54, v103, v50
	v_pk_fma_f16 v52, v54, v104, v100
	v_pk_fma_f16 v53, v55, v103, v101
	v_pk_fma_f16 v54, v55, v104, v102
	v_mul_u32_u24_sdwa v55, v40, s34 dst_sel:DWORD dst_unused:UNUSED_PAD src0_sel:WORD_0 src1_sel:DWORD
	v_mul_u32_u24_sdwa v40, v40, s34 dst_sel:DWORD dst_unused:UNUSED_PAD src0_sel:WORD_1 src1_sel:DWORD
	v_pk_fma_f16 v38, v60, v55, v38
	v_pk_fma_f16 v39, v60, v40, v39
	v_pk_fma_f16 v45, v61, v55, v45
	v_pk_fma_f16 v46, v61, v40, v46
	v_pk_fma_f16 v50, v62, v55, v50
	v_pk_fma_f16 v52, v62, v40, v52
	v_pk_fma_f16 v53, v63, v55, v53
	v_pk_fma_f16 v40, v63, v40, v54
	v_mul_u32_u24_sdwa v54, v41, s34 dst_sel:DWORD dst_unused:UNUSED_PAD src0_sel:WORD_0 src1_sel:DWORD
	v_mul_u32_u24_sdwa v41, v41, s34 dst_sel:DWORD dst_unused:UNUSED_PAD src0_sel:WORD_1 src1_sel:DWORD
	;; [unrolled: 10-line block ×7, first 2 shown]
	v_pk_fma_f16 v68, v84, v42, v38
	v_pk_fma_f16 v69, v84, v53, v39
	;; [unrolled: 1-line block ×8, first 2 shown]
	s_waitcnt vmcnt(1)
	ds_write_b128 v23, v[88:91]
	s_waitcnt vmcnt(0)
	ds_write_b128 v24, v[92:95]
	s_waitcnt lgkmcnt(0)
	s_barrier
	ds_read_b128 v[38:41], v1 offset:384
	ds_read2_b64 v[52:55], v25 offset1:32
	ds_read_b128 v[56:59], v1 offset:400
	ds_read_b128 v[60:63], v1 offset:416
	;; [unrolled: 1-line block ×3, first 2 shown]
	s_waitcnt lgkmcnt(4)
	v_mul_u32_u24_sdwa v73, v38, s34 dst_sel:DWORD dst_unused:UNUSED_PAD src0_sel:WORD_0 src1_sel:DWORD
	v_mul_u32_u24_sdwa v38, v38, s34 dst_sel:DWORD dst_unused:UNUSED_PAD src0_sel:WORD_1 src1_sel:DWORD
	s_waitcnt lgkmcnt(3)
	v_pk_fma_f16 v74, v52, v73, v68
	v_pk_fma_f16 v52, v52, v38, v69
	;; [unrolled: 1-line block ×5, first 2 shown]
	ds_read2_b64 v[68:71], v25 offset0:64 offset1:96
	v_pk_fma_f16 v38, v55, v38, v72
	v_mul_u32_u24_sdwa v72, v39, s34 dst_sel:DWORD dst_unused:UNUSED_PAD src0_sel:WORD_0 src1_sel:DWORD
	v_mul_u32_u24_sdwa v39, v39, s34 dst_sel:DWORD dst_unused:UNUSED_PAD src0_sel:WORD_1 src1_sel:DWORD
	v_pk_fma_f16 v50, v54, v73, v50
	v_pk_fma_f16 v42, v55, v73, v42
	s_waitcnt lgkmcnt(0)
	v_pk_fma_f16 v73, v68, v72, v74
	v_pk_fma_f16 v68, v68, v39, v52
	;; [unrolled: 1-line block ×5, first 2 shown]
	ds_read2_b64 v[52:55], v25 offset0:128 offset1:160
	v_pk_fma_f16 v38, v71, v39, v38
	v_mul_u32_u24_sdwa v39, v40, s34 dst_sel:DWORD dst_unused:UNUSED_PAD src0_sel:WORD_0 src1_sel:DWORD
	v_mul_u32_u24_sdwa v40, v40, s34 dst_sel:DWORD dst_unused:UNUSED_PAD src0_sel:WORD_1 src1_sel:DWORD
	v_pk_fma_f16 v50, v70, v72, v50
	v_pk_fma_f16 v42, v71, v72, v42
	s_waitcnt lgkmcnt(0)
	v_pk_fma_f16 v72, v52, v39, v73
	v_pk_fma_f16 v52, v52, v40, v68
	;; [unrolled: 1-line block ×5, first 2 shown]
	ds_read2_b64 v[68:71], v25 offset0:192 offset1:224
	v_pk_fma_f16 v50, v54, v39, v50
	v_pk_fma_f16 v42, v55, v39, v42
	;; [unrolled: 1-line block ×3, first 2 shown]
	v_mul_u32_u24_sdwa v55, v41, s34 dst_sel:DWORD dst_unused:UNUSED_PAD src0_sel:WORD_0 src1_sel:DWORD
	v_mul_u32_u24_sdwa v73, v41, s34 dst_sel:DWORD dst_unused:UNUSED_PAD src0_sel:WORD_1 src1_sel:DWORD
	ds_read2_b64 v[38:41], v34 offset1:32
	s_waitcnt lgkmcnt(1)
	v_pk_fma_f16 v72, v68, v55, v72
	v_pk_fma_f16 v52, v68, v73, v52
	;; [unrolled: 1-line block ×6, first 2 shown]
	v_mul_u32_u24_sdwa v69, v56, s34 dst_sel:DWORD dst_unused:UNUSED_PAD src0_sel:WORD_0 src1_sel:DWORD
	v_mul_u32_u24_sdwa v56, v56, s34 dst_sel:DWORD dst_unused:UNUSED_PAD src0_sel:WORD_1 src1_sel:DWORD
	v_pk_fma_f16 v42, v71, v55, v42
	v_pk_fma_f16 v68, v71, v73, v54
	s_waitcnt lgkmcnt(0)
	v_pk_fma_f16 v70, v38, v69, v72
	v_pk_fma_f16 v38, v38, v56, v52
	;; [unrolled: 1-line block ×6, first 2 shown]
	ds_read2_b64 v[52:55], v34 offset0:64 offset1:96
	v_pk_fma_f16 v50, v41, v56, v68
	v_mul_u32_u24_sdwa v56, v57, s34 dst_sel:DWORD dst_unused:UNUSED_PAD src0_sel:WORD_0 src1_sel:DWORD
	v_mul_u32_u24_sdwa v57, v57, s34 dst_sel:DWORD dst_unused:UNUSED_PAD src0_sel:WORD_1 src1_sel:DWORD
	v_pk_fma_f16 v42, v41, v69, v42
	s_waitcnt lgkmcnt(0)
	v_pk_fma_f16 v68, v52, v56, v70
	v_pk_fma_f16 v52, v52, v57, v38
	;; [unrolled: 1-line block ×6, first 2 shown]
	ds_read2_b64 v[38:41], v34 offset0:128 offset1:160
	v_pk_fma_f16 v42, v55, v56, v42
	v_pk_fma_f16 v50, v55, v57, v50
	v_mul_u32_u24_sdwa v56, v58, s34 dst_sel:DWORD dst_unused:UNUSED_PAD src0_sel:WORD_0 src1_sel:DWORD
	v_mul_u32_u24_sdwa v57, v58, s34 dst_sel:DWORD dst_unused:UNUSED_PAD src0_sel:WORD_1 src1_sel:DWORD
	s_waitcnt lgkmcnt(0)
	v_pk_fma_f16 v58, v38, v56, v68
	v_pk_fma_f16 v38, v38, v57, v52
	;; [unrolled: 1-line block ×6, first 2 shown]
	ds_read2_b64 v[52:55], v34 offset0:192 offset1:224
	v_pk_fma_f16 v34, v41, v56, v42
	v_pk_fma_f16 v42, v41, v57, v50
	v_mul_u32_u24_sdwa v50, v59, s34 dst_sel:DWORD dst_unused:UNUSED_PAD src0_sel:WORD_0 src1_sel:DWORD
	v_mul_u32_u24_sdwa v56, v59, s34 dst_sel:DWORD dst_unused:UNUSED_PAD src0_sel:WORD_1 src1_sel:DWORD
	s_waitcnt lgkmcnt(0)
	v_pk_fma_f16 v57, v52, v50, v58
	v_pk_fma_f16 v52, v52, v56, v38
	;; [unrolled: 1-line block ×6, first 2 shown]
	ds_read2_b64 v[38:41], v35 offset1:32
	v_pk_fma_f16 v34, v55, v50, v34
	v_pk_fma_f16 v42, v55, v56, v42
	v_mul_u32_u24_sdwa v50, v60, s34 dst_sel:DWORD dst_unused:UNUSED_PAD src0_sel:WORD_0 src1_sel:DWORD
	v_mul_u32_u24_sdwa v56, v60, s34 dst_sel:DWORD dst_unused:UNUSED_PAD src0_sel:WORD_1 src1_sel:DWORD
	s_waitcnt lgkmcnt(0)
	v_pk_fma_f16 v57, v38, v50, v57
	v_pk_fma_f16 v38, v38, v56, v52
	v_pk_fma_f16 v45, v39, v50, v45
	v_pk_fma_f16 v39, v39, v56, v53
	v_pk_fma_f16 v46, v40, v50, v46
	v_pk_fma_f16 v40, v40, v56, v54
	ds_read2_b64 v[52:55], v35 offset0:64 offset1:96
	v_pk_fma_f16 v34, v41, v50, v34
	v_pk_fma_f16 v42, v41, v56, v42
	v_mul_u32_u24_sdwa v50, v61, s34 dst_sel:DWORD dst_unused:UNUSED_PAD src0_sel:WORD_0 src1_sel:DWORD
	v_mul_u32_u24_sdwa v56, v61, s34 dst_sel:DWORD dst_unused:UNUSED_PAD src0_sel:WORD_1 src1_sel:DWORD
	s_waitcnt lgkmcnt(0)
	v_pk_fma_f16 v57, v52, v50, v57
	v_pk_fma_f16 v52, v52, v56, v38
	v_pk_fma_f16 v45, v53, v50, v45
	v_pk_fma_f16 v53, v53, v56, v39
	v_pk_fma_f16 v46, v54, v50, v46
	v_pk_fma_f16 v54, v54, v56, v40
	ds_read2_b64 v[38:41], v35 offset0:128 offset1:160
	;; [unrolled: 12-line block ×3, first 2 shown]
	v_pk_fma_f16 v34, v41, v50, v34
	v_pk_fma_f16 v35, v41, v56, v42
	v_mul_u32_u24_sdwa v42, v63, s34 dst_sel:DWORD dst_unused:UNUSED_PAD src0_sel:WORD_0 src1_sel:DWORD
	v_mul_u32_u24_sdwa v50, v63, s34 dst_sel:DWORD dst_unused:UNUSED_PAD src0_sel:WORD_1 src1_sel:DWORD
	s_waitcnt lgkmcnt(0)
	v_pk_fma_f16 v56, v52, v42, v57
	v_pk_fma_f16 v52, v52, v50, v38
	;; [unrolled: 1-line block ×6, first 2 shown]
	ds_read2_b64 v[38:41], v36 offset1:32
	v_pk_fma_f16 v34, v55, v42, v34
	v_pk_fma_f16 v35, v55, v50, v35
	v_mul_u32_u24_sdwa v42, v64, s34 dst_sel:DWORD dst_unused:UNUSED_PAD src0_sel:WORD_0 src1_sel:DWORD
	v_mul_u32_u24_sdwa v50, v64, s34 dst_sel:DWORD dst_unused:UNUSED_PAD src0_sel:WORD_1 src1_sel:DWORD
	s_waitcnt lgkmcnt(0)
	v_pk_fma_f16 v56, v38, v42, v56
	v_pk_fma_f16 v38, v38, v50, v52
	v_pk_fma_f16 v45, v39, v42, v45
	v_pk_fma_f16 v39, v39, v50, v53
	v_pk_fma_f16 v46, v40, v42, v46
	v_pk_fma_f16 v40, v40, v50, v54
	ds_read2_b64 v[52:55], v36 offset0:64 offset1:96
	v_pk_fma_f16 v34, v41, v42, v34
	v_pk_fma_f16 v35, v41, v50, v35
	v_mul_u32_u24_sdwa v42, v65, s34 dst_sel:DWORD dst_unused:UNUSED_PAD src0_sel:WORD_0 src1_sel:DWORD
	v_mul_u32_u24_sdwa v50, v65, s34 dst_sel:DWORD dst_unused:UNUSED_PAD src0_sel:WORD_1 src1_sel:DWORD
	s_waitcnt lgkmcnt(0)
	v_pk_fma_f16 v56, v52, v42, v56
	v_pk_fma_f16 v52, v52, v50, v38
	v_pk_fma_f16 v45, v53, v42, v45
	v_pk_fma_f16 v53, v53, v50, v39
	v_pk_fma_f16 v46, v54, v42, v46
	v_pk_fma_f16 v54, v54, v50, v40
	ds_read2_b64 v[38:41], v36 offset0:128 offset1:160
	;; [unrolled: 12-line block ×3, first 2 shown]
	v_pk_fma_f16 v34, v41, v42, v34
	v_mul_u32_u24_sdwa v42, v67, s34 dst_sel:DWORD dst_unused:UNUSED_PAD src0_sel:WORD_1 src1_sel:DWORD
	v_pk_fma_f16 v35, v41, v50, v35
	v_mul_u32_u24_sdwa v36, v67, s34 dst_sel:DWORD dst_unused:UNUSED_PAD src0_sel:WORD_0 src1_sel:DWORD
	s_waitcnt lgkmcnt(0)
	v_pk_fma_f16 v60, v52, v42, v38
	v_pk_fma_f16 v61, v53, v42, v39
	;; [unrolled: 1-line block ×3, first 2 shown]
	ds_read_b128 v[38:41], v1 offset:448
	v_pk_fma_f16 v50, v52, v36, v56
	ds_read2_b64 v[56:59], v31 offset1:32
	v_pk_fma_f16 v45, v53, v36, v45
	v_pk_fma_f16 v46, v54, v36, v46
	;; [unrolled: 1-line block ×4, first 2 shown]
	ds_read_b128 v[52:55], v1 offset:464
	s_waitcnt lgkmcnt(2)
	v_mul_u32_u24_sdwa v36, v38, s34 dst_sel:DWORD dst_unused:UNUSED_PAD src0_sel:WORD_0 src1_sel:DWORD
	v_mul_u32_u24_sdwa v38, v38, s34 dst_sel:DWORD dst_unused:UNUSED_PAD src0_sel:WORD_1 src1_sel:DWORD
	s_waitcnt lgkmcnt(1)
	v_pk_fma_f16 v42, v56, v36, v50
	v_pk_fma_f16 v50, v56, v38, v60
	;; [unrolled: 1-line block ×5, first 2 shown]
	ds_read2_b64 v[60:63], v31 offset0:64 offset1:96
	v_pk_fma_f16 v46, v58, v36, v46
	v_pk_fma_f16 v34, v59, v36, v34
	;; [unrolled: 1-line block ×3, first 2 shown]
	v_mul_u32_u24_sdwa v36, v39, s34 dst_sel:DWORD dst_unused:UNUSED_PAD src0_sel:WORD_0 src1_sel:DWORD
	v_mul_u32_u24_sdwa v38, v39, s34 dst_sel:DWORD dst_unused:UNUSED_PAD src0_sel:WORD_1 src1_sel:DWORD
	s_waitcnt lgkmcnt(0)
	v_pk_fma_f16 v39, v60, v36, v42
	v_pk_fma_f16 v42, v60, v38, v50
	;; [unrolled: 1-line block ×4, first 2 shown]
	ds_read2_b64 v[56:59], v31 offset0:128 offset1:160
	v_pk_fma_f16 v45, v61, v36, v45
	v_pk_fma_f16 v46, v62, v36, v46
	;; [unrolled: 1-line block ×4, first 2 shown]
	v_mul_u32_u24_sdwa v36, v40, s34 dst_sel:DWORD dst_unused:UNUSED_PAD src0_sel:WORD_0 src1_sel:DWORD
	v_mul_u32_u24_sdwa v38, v40, s34 dst_sel:DWORD dst_unused:UNUSED_PAD src0_sel:WORD_1 src1_sel:DWORD
	s_waitcnt lgkmcnt(0)
	v_pk_fma_f16 v40, v56, v38, v42
	v_pk_fma_f16 v42, v57, v36, v45
	;; [unrolled: 1-line block ×4, first 2 shown]
	ds_read2_b64 v[60:63], v31 offset0:192 offset1:224
	v_pk_fma_f16 v39, v56, v36, v39
	v_pk_fma_f16 v46, v58, v36, v46
	;; [unrolled: 1-line block ×4, first 2 shown]
	v_mul_u32_u24_sdwa v35, v41, s34 dst_sel:DWORD dst_unused:UNUSED_PAD src0_sel:WORD_0 src1_sel:DWORD
	v_mul_u32_u24_sdwa v36, v41, s34 dst_sel:DWORD dst_unused:UNUSED_PAD src0_sel:WORD_1 src1_sel:DWORD
	s_waitcnt lgkmcnt(0)
	v_pk_fma_f16 v56, v60, v35, v39
	v_pk_fma_f16 v57, v60, v36, v40
	ds_read2_b64 v[38:41], v37 offset1:32
	v_pk_fma_f16 v42, v61, v35, v42
	v_pk_fma_f16 v45, v61, v36, v45
	;; [unrolled: 1-line block ×6, first 2 shown]
	v_mul_u32_u24_sdwa v35, v52, s34 dst_sel:DWORD dst_unused:UNUSED_PAD src0_sel:WORD_0 src1_sel:DWORD
	v_mul_u32_u24_sdwa v36, v52, s34 dst_sel:DWORD dst_unused:UNUSED_PAD src0_sel:WORD_1 src1_sel:DWORD
	s_waitcnt lgkmcnt(0)
	v_pk_fma_f16 v52, v38, v35, v56
	v_pk_fma_f16 v38, v38, v36, v57
	ds_read2_b64 v[56:59], v37 offset0:64 offset1:96
	v_pk_fma_f16 v42, v39, v35, v42
	v_pk_fma_f16 v39, v39, v36, v45
	;; [unrolled: 1-line block ×6, first 2 shown]
	v_mul_u32_u24_sdwa v35, v53, s34 dst_sel:DWORD dst_unused:UNUSED_PAD src0_sel:WORD_0 src1_sel:DWORD
	v_mul_u32_u24_sdwa v36, v53, s34 dst_sel:DWORD dst_unused:UNUSED_PAD src0_sel:WORD_1 src1_sel:DWORD
	s_waitcnt lgkmcnt(0)
	v_pk_fma_f16 v46, v56, v35, v52
	v_pk_fma_f16 v50, v56, v36, v38
	v_pk_fma_f16 v52, v57, v36, v39
	v_pk_fma_f16 v53, v58, v36, v40
	ds_read2_b64 v[38:41], v37 offset0:128 offset1:160
	v_pk_fma_f16 v42, v57, v35, v42
	v_pk_fma_f16 v45, v58, v35, v45
	;; [unrolled: 1-line block ×4, first 2 shown]
	ds_read2_b64 v[34:37], v37 offset0:192 offset1:224
	v_mul_u32_u24_sdwa v57, v54, s34 dst_sel:DWORD dst_unused:UNUSED_PAD src0_sel:WORD_0 src1_sel:DWORD
	v_mul_u32_u24_sdwa v54, v54, s34 dst_sel:DWORD dst_unused:UNUSED_PAD src0_sel:WORD_1 src1_sel:DWORD
	s_waitcnt lgkmcnt(1)
	v_pk_fma_f16 v46, v38, v57, v46
	v_pk_fma_f16 v38, v38, v54, v50
	;; [unrolled: 1-line block ×7, first 2 shown]
	v_mul_u32_u24_sdwa v56, v55, s34 dst_sel:DWORD dst_unused:UNUSED_PAD src0_sel:WORD_1 src1_sel:DWORD
	v_pk_fma_f16 v31, v41, v57, v31
	v_mul_u32_u24_sdwa v52, v55, s34 dst_sel:DWORD dst_unused:UNUSED_PAD src0_sel:WORD_0 src1_sel:DWORD
	s_waitcnt lgkmcnt(0)
	v_pk_fma_f16 v57, v34, v56, v38
	v_pk_fma_f16 v58, v35, v56, v39
	;; [unrolled: 1-line block ×3, first 2 shown]
	ds_read_b128 v[38:41], v1 offset:480
	v_pk_fma_f16 v46, v34, v52, v46
	v_pk_fma_f16 v42, v35, v52, v42
	;; [unrolled: 1-line block ×4, first 2 shown]
	ds_read2_b64 v[52:55], v32 offset1:32
	v_pk_fma_f16 v50, v37, v56, v50
	ds_read_b128 v[34:37], v1 offset:496
	s_waitcnt lgkmcnt(2)
	v_mul_u32_u24_sdwa v60, v38, s34 dst_sel:DWORD dst_unused:UNUSED_PAD src0_sel:WORD_0 src1_sel:DWORD
	v_mul_u32_u24_sdwa v38, v38, s34 dst_sel:DWORD dst_unused:UNUSED_PAD src0_sel:WORD_1 src1_sel:DWORD
	s_waitcnt lgkmcnt(1)
	v_pk_fma_f16 v46, v52, v60, v46
	v_pk_fma_f16 v52, v52, v38, v57
	v_pk_fma_f16 v42, v53, v60, v42
	v_pk_fma_f16 v53, v53, v38, v58
	v_pk_fma_f16 v45, v54, v60, v45
	v_pk_fma_f16 v54, v54, v38, v59
	ds_read2_b64 v[56:59], v32 offset0:64 offset1:96
	v_pk_fma_f16 v38, v55, v38, v50
	v_mul_u32_u24_sdwa v50, v39, s34 dst_sel:DWORD dst_unused:UNUSED_PAD src0_sel:WORD_0 src1_sel:DWORD
	v_mul_u32_u24_sdwa v39, v39, s34 dst_sel:DWORD dst_unused:UNUSED_PAD src0_sel:WORD_1 src1_sel:DWORD
	v_pk_fma_f16 v31, v55, v60, v31
	s_waitcnt lgkmcnt(0)
	v_pk_fma_f16 v46, v56, v50, v46
	v_pk_fma_f16 v56, v56, v39, v52
	;; [unrolled: 1-line block ×6, first 2 shown]
	ds_read2_b64 v[52:55], v32 offset0:128 offset1:160
	v_pk_fma_f16 v38, v59, v39, v38
	v_mul_u32_u24_sdwa v39, v40, s34 dst_sel:DWORD dst_unused:UNUSED_PAD src0_sel:WORD_0 src1_sel:DWORD
	v_mul_u32_u24_sdwa v40, v40, s34 dst_sel:DWORD dst_unused:UNUSED_PAD src0_sel:WORD_1 src1_sel:DWORD
	v_pk_fma_f16 v31, v59, v50, v31
	s_waitcnt lgkmcnt(0)
	v_pk_fma_f16 v46, v52, v39, v46
	v_pk_fma_f16 v50, v52, v40, v56
	;; [unrolled: 1-line block ×5, first 2 shown]
	ds_read2_b64 v[56:59], v32 offset0:192 offset1:224
	v_pk_fma_f16 v45, v54, v39, v45
	v_pk_fma_f16 v31, v55, v39, v31
	;; [unrolled: 1-line block ×3, first 2 shown]
	v_mul_u32_u24_sdwa v54, v41, s34 dst_sel:DWORD dst_unused:UNUSED_PAD src0_sel:WORD_0 src1_sel:DWORD
	v_mul_u32_u24_sdwa v55, v41, s34 dst_sel:DWORD dst_unused:UNUSED_PAD src0_sel:WORD_1 src1_sel:DWORD
	ds_read2_b64 v[38:41], v33 offset1:32
	s_waitcnt lgkmcnt(1)
	v_pk_fma_f16 v46, v56, v54, v46
	v_pk_fma_f16 v50, v56, v55, v50
	;; [unrolled: 1-line block ×6, first 2 shown]
	v_mul_u32_u24_sdwa v56, v34, s34 dst_sel:DWORD dst_unused:UNUSED_PAD src0_sel:WORD_0 src1_sel:DWORD
	v_mul_u32_u24_sdwa v34, v34, s34 dst_sel:DWORD dst_unused:UNUSED_PAD src0_sel:WORD_1 src1_sel:DWORD
	v_pk_fma_f16 v31, v59, v54, v31
	v_pk_fma_f16 v32, v59, v55, v32
	s_waitcnt lgkmcnt(0)
	v_pk_fma_f16 v42, v39, v56, v42
	v_pk_fma_f16 v39, v39, v34, v52
	;; [unrolled: 1-line block ×4, first 2 shown]
	ds_read2_b64 v[52:55], v33 offset0:64 offset1:96
	v_pk_fma_f16 v46, v38, v56, v46
	v_pk_fma_f16 v38, v38, v34, v50
	v_pk_fma_f16 v32, v41, v34, v32
	v_mul_u32_u24_sdwa v34, v35, s34 dst_sel:DWORD dst_unused:UNUSED_PAD src0_sel:WORD_0 src1_sel:DWORD
	v_mul_u32_u24_sdwa v35, v35, s34 dst_sel:DWORD dst_unused:UNUSED_PAD src0_sel:WORD_1 src1_sel:DWORD
	v_pk_fma_f16 v31, v41, v56, v31
	s_waitcnt lgkmcnt(0)
	v_pk_fma_f16 v46, v52, v34, v46
	v_pk_fma_f16 v50, v52, v35, v38
	;; [unrolled: 1-line block ×5, first 2 shown]
	ds_read2_b64 v[38:41], v33 offset0:128 offset1:160
	v_pk_fma_f16 v45, v54, v34, v45
	v_pk_fma_f16 v31, v55, v34, v31
	;; [unrolled: 1-line block ×3, first 2 shown]
	v_mul_u32_u24_sdwa v34, v36, s34 dst_sel:DWORD dst_unused:UNUSED_PAD src0_sel:WORD_0 src1_sel:DWORD
	v_mul_u32_u24_sdwa v35, v36, s34 dst_sel:DWORD dst_unused:UNUSED_PAD src0_sel:WORD_1 src1_sel:DWORD
	s_waitcnt lgkmcnt(0)
	v_pk_fma_f16 v42, v39, v34, v42
	v_pk_fma_f16 v39, v39, v35, v52
	;; [unrolled: 1-line block ×4, first 2 shown]
	ds_read2_b64 v[52:55], v33 offset0:192 offset1:224
	s_waitcnt lgkmcnt(0)
	s_barrier
	s_load_dword s8, s[0:1], 0x4
	v_pk_fma_f16 v36, v38, v34, v46
	v_pk_fma_f16 v38, v38, v35, v50
	;; [unrolled: 1-line block ×4, first 2 shown]
	s_waitcnt lgkmcnt(0)
	s_lshl_b32 s8, s8, 7
	v_mul_u32_u24_sdwa v46, v37, s34 dst_sel:DWORD dst_unused:UNUSED_PAD src0_sel:WORD_0 src1_sel:DWORD
	v_mul_u32_u24_sdwa v50, v37, s34 dst_sel:DWORD dst_unused:UNUSED_PAD src0_sel:WORD_1 src1_sel:DWORD
	s_add_i32 s6, s8, s6
	v_pk_fma_f16 v35, v52, v46, v36
	v_pk_fma_f16 v32, v52, v50, v38
	;; [unrolled: 1-line block ×7, first 2 shown]
	s_cmp_ge_i32 s6, s28
	v_pk_fma_f16 v31, v55, v50, v41
	s_cbranch_scc1 .LBB5_11
; %bb.49:                               ;   in Loop: Header=BB5_16 Depth=1
	v_mov_b32_e32 v42, v11
	v_mov_b32_e32 v40, v12
	v_mov_b32_e32 v41, v43
	v_mov_b32_e32 v39, v44
	s_branch .LBB5_16
.LBB5_50:
                                        ; implicit-def: $vgpr6
                                        ; implicit-def: $vgpr3_vgpr4
.LBB5_51:
	v_ashrrev_i32_e32 v6, 31, v5
	v_lshlrev_b64 v[3:4], 2, v[5:6]
	v_mov_b32_e32 v6, s17
	v_add_co_u32_e32 v3, vcc, s16, v3
	v_addc_co_u32_e32 v4, vcc, v6, v4, vcc
	global_load_dwordx2 v[3:4], v[3:4], off
	v_max_f32_e32 v6, v11, v11
	v_max_f32_e32 v7, v12, v12
	s_mov_b32 s0, 0x3fb8aa3b
	s_mov_b32 s1, 0xc2ce8ed0
	;; [unrolled: 1-line block ×3, first 2 shown]
	v_mov_b32_e32 v8, 0x7f800000
	s_waitcnt vmcnt(0)
	v_max_f32_e32 v9, v3, v3
	v_max_f32_e32 v10, v4, v4
	;; [unrolled: 1-line block ×4, first 2 shown]
	v_sub_f32_e32 v9, v11, v6
	v_sub_f32_e32 v10, v12, v7
	v_mov_b32_e32 v12, v7
	v_sub_f32_e32 v3, v3, v6
	v_mov_b32_e32 v11, v6
	v_mul_f32_e32 v6, 0x3fb8aa3b, v9
	v_sub_f32_e32 v4, v4, v7
	v_mul_f32_e32 v7, 0x3fb8aa3b, v3
	v_fma_f32 v17, v9, s0, -v6
	v_rndne_f32_e32 v18, v6
	v_mul_f32_e32 v13, 0x3fb8aa3b, v10
	v_fma_f32 v19, v3, s0, -v7
	v_rndne_f32_e32 v20, v7
	v_fmac_f32_e32 v17, 0x32a5705f, v9
	v_sub_f32_e32 v6, v6, v18
	v_mul_f32_e32 v14, 0x3fb8aa3b, v4
	v_fma_f32 v21, v10, s0, -v13
	v_rndne_f32_e32 v22, v13
	v_fmac_f32_e32 v19, 0x32a5705f, v3
	v_sub_f32_e32 v7, v7, v20
	v_add_f32_e32 v6, v6, v17
	v_fma_f32 v23, v4, s0, -v14
	v_rndne_f32_e32 v24, v14
	v_cvt_i32_f32_e32 v18, v18
	v_fmac_f32_e32 v21, 0x32a5705f, v10
	v_sub_f32_e32 v13, v13, v22
	v_add_f32_e32 v7, v7, v19
	v_exp_f32_e32 v6, v6
	v_cvt_i32_f32_e32 v20, v20
	v_fmac_f32_e32 v23, 0x32a5705f, v4
	v_sub_f32_e32 v14, v14, v24
	v_add_f32_e32 v13, v13, v21
	v_exp_f32_e32 v7, v7
	v_cvt_i32_f32_e32 v22, v22
	v_add_f32_e32 v14, v14, v23
	v_exp_f32_e32 v13, v13
	v_cvt_i32_f32_e32 v24, v24
	v_exp_f32_e32 v14, v14
	v_ldexp_f32 v6, v6, v18
	v_cmp_ngt_f32_e32 vcc, s1, v9
	v_ldexp_f32 v7, v7, v20
	v_cndmask_b32_e32 v6, 0, v6, vcc
	v_cmp_ngt_f32_e32 vcc, s1, v3
	v_ldexp_f32 v13, v13, v22
	v_cndmask_b32_e32 v7, 0, v7, vcc
	;; [unrolled: 3-line block ×3, first 2 shown]
	v_cmp_ngt_f32_e32 vcc, s1, v4
	v_cndmask_b32_e32 v14, 0, v14, vcc
	v_cmp_nlt_f32_e32 vcc, s6, v9
	v_cndmask_b32_e32 v6, v8, v6, vcc
	v_cmp_nlt_f32_e32 vcc, s6, v3
	;; [unrolled: 2-line block ×4, first 2 shown]
	v_cndmask_b32_e32 v4, v8, v14, vcc
	v_fmac_f32_e32 v3, v1, v6
	v_cvt_f16_f32_e32 v6, v6
	v_cvt_f16_f32_e32 v8, v7
	v_fmac_f32_e32 v4, v2, v7
	v_mov_b32_e32 v1, v3
	v_mul_u32_u24_e32 v2, 0x10001, v6
	v_mul_u32_u24_e32 v6, 0x10001, v8
	v_pk_mul_f16 v35, v35, v2
	v_pk_mul_f16 v38, v38, v2
	;; [unrolled: 1-line block ×8, first 2 shown]
	v_mov_b32_e32 v2, v4
.LBB5_52:
	s_load_dword s6, s[4:5], 0xd4
	v_mov_b32_e32 v6, 1.0
	s_waitcnt lgkmcnt(0)
	s_cmp_lg_u32 s6, 1
	s_cselect_b64 s[0:1], -1, 0
	s_cmp_eq_u32 s6, 1
	s_cselect_b64 s[4:5], -1, 0
	s_and_b64 vcc, exec, s[0:1]
	s_cbranch_vccnz .LBB5_54
; %bb.53:
	v_div_scale_f32 v6, s[8:9], v1, v1, 1.0
	v_div_scale_f32 v7, vcc, 1.0, v1, 1.0
	v_rcp_f32_e32 v8, v6
	v_fma_f32 v9, -v6, v8, 1.0
	v_fmac_f32_e32 v8, v9, v8
	v_mul_f32_e32 v9, v7, v8
	v_fma_f32 v10, -v6, v9, v7
	v_fmac_f32_e32 v9, v10, v8
	v_fma_f32 v6, -v6, v9, v7
	v_div_fmas_f32 v6, v6, v8, v9
	v_div_fixup_f32 v6, v6, v1, 1.0
.LBB5_54:
	s_mul_i32 s33, s33, s2
	v_add_u32_e32 v1, s33, v15
	v_mad_u64_u32 v[7:8], s[2:3], v1, s3, v[5:6]
	v_cmp_eq_u32_e32 vcc, 0, v0
	v_cvt_f32_f16_e32 v14, v35
	v_mul_lo_u32 v0, s6, v7
	v_cvt_f32_f16_sdwa v7, v35 dst_sel:DWORD dst_unused:UNUSED_PAD src0_sel:WORD_1
	v_cvt_f32_f16_sdwa v1, v38 dst_sel:DWORD dst_unused:UNUSED_PAD src0_sel:WORD_1
	v_cvt_f32_f16_e32 v5, v38
	v_add_u32_e32 v0, s7, v0
	v_lshl_add_u32 v13, v0, 8, v16
	v_mul_f32_e32 v8, v6, v7
	v_mul_f32_e32 v7, v6, v14
	v_mov_b32_e32 v14, 0
	v_lshlrev_b64 v[17:18], 2, v[13:14]
	s_and_b64 s[0:1], vcc, s[0:1]
	v_mul_f32_e32 v10, v6, v1
	v_mov_b32_e32 v1, s21
	v_add_co_u32_e32 v17, vcc, s20, v17
	v_mul_f32_e32 v9, v6, v5
	v_addc_co_u32_e32 v18, vcc, v1, v18, vcc
	v_cvt_f32_f16_sdwa v1, v37 dst_sel:DWORD dst_unused:UNUSED_PAD src0_sel:WORD_1
	global_store_dwordx4 v[17:18], v[7:10], off
	v_cvt_f32_f16_e32 v5, v37
	v_cvt_f32_f16_sdwa v7, v36 dst_sel:DWORD dst_unused:UNUSED_PAD src0_sel:WORD_1
	v_cvt_f32_f16_e32 v10, v36
	v_add_u32_e32 v13, 0x80, v13
	v_lshlrev_b64 v[13:14], 2, v[13:14]
	v_mul_f32_e32 v9, v6, v1
	v_mov_b32_e32 v1, s21
	v_add_co_u32_e32 v13, vcc, s20, v13
	v_mul_f32_e32 v8, v6, v5
	v_mul_f32_e32 v7, v6, v7
	;; [unrolled: 1-line block ×3, first 2 shown]
	v_addc_co_u32_e32 v14, vcc, v1, v14, vcc
	global_store_dwordx4 v[13:14], v[6:9], off
	s_and_saveexec_b64 s[2:3], s[0:1]
	s_cbranch_execz .LBB5_56
; %bb.55:
	v_ashrrev_i32_e32 v1, 31, v0
	v_lshlrev_b64 v[5:6], 3, v[0:1]
	v_mov_b32_e32 v1, s23
	v_add_co_u32_e32 v5, vcc, s22, v5
	v_addc_co_u32_e32 v6, vcc, v1, v6, vcc
	v_mov_b32_e32 v7, v11
	v_mov_b32_e32 v8, v3
	global_store_dwordx2 v[5:6], v[7:8], off
.LBB5_56:
	s_or_b64 exec, exec, s[2:3]
	s_andn2_b64 vcc, exec, s[4:5]
	v_mov_b32_e32 v1, 1.0
	s_cbranch_vccnz .LBB5_58
; %bb.57:
	v_div_scale_f32 v1, s[2:3], v2, v2, 1.0
	v_div_scale_f32 v3, vcc, 1.0, v2, 1.0
	v_rcp_f32_e32 v5, v1
	v_fma_f32 v6, -v1, v5, 1.0
	v_fmac_f32_e32 v5, v6, v5
	v_mul_f32_e32 v6, v3, v5
	v_fma_f32 v7, -v1, v6, v3
	v_fmac_f32_e32 v6, v7, v5
	v_fma_f32 v1, -v1, v6, v3
	v_div_fmas_f32 v1, v1, v5, v6
	v_div_fixup_f32 v1, v1, v2, 1.0
.LBB5_58:
	v_cvt_f32_f16_sdwa v3, v34 dst_sel:DWORD dst_unused:UNUSED_PAD src0_sel:WORD_1
	v_cvt_f32_f16_e32 v5, v34
	v_cvt_f32_f16_e32 v9, v32
	v_add_u32_e32 v0, s6, v0
	v_lshl_add_u32 v2, v0, 8, v16
	v_cvt_f32_f16_sdwa v6, v32 dst_sel:DWORD dst_unused:UNUSED_PAD src0_sel:WORD_1
	v_mul_f32_e32 v8, v1, v3
	v_mov_b32_e32 v3, 0
	v_mul_f32_e32 v7, v1, v5
	v_mul_f32_e32 v5, v1, v9
	v_lshlrev_b64 v[9:10], 2, v[2:3]
	v_mov_b32_e32 v11, s21
	v_add_co_u32_e32 v9, vcc, s20, v9
	v_mul_f32_e32 v6, v1, v6
	v_addc_co_u32_e32 v10, vcc, v11, v10, vcc
	global_store_dwordx4 v[9:10], v[5:8], off
	v_cvt_f32_f16_sdwa v9, v33 dst_sel:DWORD dst_unused:UNUSED_PAD src0_sel:WORD_1
	v_cvt_f32_f16_sdwa v5, v31 dst_sel:DWORD dst_unused:UNUSED_PAD src0_sel:WORD_1
	v_cvt_f32_f16_e32 v6, v31
	v_cvt_f32_f16_e32 v10, v33
	v_add_u32_e32 v2, 0x80, v2
	v_mul_f32_e32 v8, v1, v5
	v_mul_f32_e32 v7, v1, v6
	;; [unrolled: 1-line block ×4, first 2 shown]
	v_lshlrev_b64 v[1:2], 2, v[2:3]
	v_mov_b32_e32 v3, s21
	v_add_co_u32_e32 v1, vcc, s20, v1
	v_addc_co_u32_e32 v2, vcc, v3, v2, vcc
	global_store_dwordx4 v[1:2], v[5:8], off
	s_and_saveexec_b64 s[2:3], s[0:1]
	s_cbranch_execz .LBB5_60
; %bb.59:
	v_ashrrev_i32_e32 v1, 31, v0
	v_lshlrev_b64 v[0:1], 3, v[0:1]
	v_mov_b32_e32 v2, s23
	v_add_co_u32_e32 v0, vcc, s22, v0
	v_addc_co_u32_e32 v1, vcc, v2, v1, vcc
	v_mov_b32_e32 v3, v12
	global_store_dwordx2 v[0:1], v[3:4], off
.LBB5_60:
	s_endpgm
	.section	.rodata,"a",@progbits
	.p2align	6, 0x0
	.amdhsa_kernel _ZL15flash_attn_tileILi320ELi256ELi1ELi32ELb1EEvPKcS1_S1_S1_S1_PKiPfP15HIP_vector_typeIfLj2EEffffjfiS5_IjLj3EEiiiiiiiiiiiliiliiiiil
		.amdhsa_group_segment_fixed_size 47104
		.amdhsa_private_segment_fixed_size 0
		.amdhsa_kernarg_size 464
		.amdhsa_user_sgpr_count 6
		.amdhsa_user_sgpr_private_segment_buffer 1
		.amdhsa_user_sgpr_dispatch_ptr 0
		.amdhsa_user_sgpr_queue_ptr 0
		.amdhsa_user_sgpr_kernarg_segment_ptr 1
		.amdhsa_user_sgpr_dispatch_id 0
		.amdhsa_user_sgpr_flat_scratch_init 0
		.amdhsa_user_sgpr_private_segment_size 0
		.amdhsa_uses_dynamic_stack 0
		.amdhsa_system_sgpr_private_segment_wavefront_offset 0
		.amdhsa_system_sgpr_workgroup_id_x 1
		.amdhsa_system_sgpr_workgroup_id_y 1
		.amdhsa_system_sgpr_workgroup_id_z 1
		.amdhsa_system_sgpr_workgroup_info 0
		.amdhsa_system_vgpr_workitem_id 1
		.amdhsa_next_free_vgpr 105
		.amdhsa_next_free_sgpr 98
		.amdhsa_reserve_vcc 1
		.amdhsa_reserve_flat_scratch 0
		.amdhsa_float_round_mode_32 0
		.amdhsa_float_round_mode_16_64 0
		.amdhsa_float_denorm_mode_32 3
		.amdhsa_float_denorm_mode_16_64 3
		.amdhsa_dx10_clamp 1
		.amdhsa_ieee_mode 1
		.amdhsa_fp16_overflow 0
		.amdhsa_exception_fp_ieee_invalid_op 0
		.amdhsa_exception_fp_denorm_src 0
		.amdhsa_exception_fp_ieee_div_zero 0
		.amdhsa_exception_fp_ieee_overflow 0
		.amdhsa_exception_fp_ieee_underflow 0
		.amdhsa_exception_fp_ieee_inexact 0
		.amdhsa_exception_int_div_zero 0
	.end_amdhsa_kernel
	.section	.text._ZL15flash_attn_tileILi320ELi256ELi1ELi32ELb1EEvPKcS1_S1_S1_S1_PKiPfP15HIP_vector_typeIfLj2EEffffjfiS5_IjLj3EEiiiiiiiiiiiliiliiiiil,"axG",@progbits,_ZL15flash_attn_tileILi320ELi256ELi1ELi32ELb1EEvPKcS1_S1_S1_S1_PKiPfP15HIP_vector_typeIfLj2EEffffjfiS5_IjLj3EEiiiiiiiiiiiliiliiiiil,comdat
.Lfunc_end5:
	.size	_ZL15flash_attn_tileILi320ELi256ELi1ELi32ELb1EEvPKcS1_S1_S1_S1_PKiPfP15HIP_vector_typeIfLj2EEffffjfiS5_IjLj3EEiiiiiiiiiiiliiliiiiil, .Lfunc_end5-_ZL15flash_attn_tileILi320ELi256ELi1ELi32ELb1EEvPKcS1_S1_S1_S1_PKiPfP15HIP_vector_typeIfLj2EEffffjfiS5_IjLj3EEiiiiiiiiiiiliiliiiiil
                                        ; -- End function
	.set _ZL15flash_attn_tileILi320ELi256ELi1ELi32ELb1EEvPKcS1_S1_S1_S1_PKiPfP15HIP_vector_typeIfLj2EEffffjfiS5_IjLj3EEiiiiiiiiiiiliiliiiiil.num_vgpr, 105
	.set _ZL15flash_attn_tileILi320ELi256ELi1ELi32ELb1EEvPKcS1_S1_S1_S1_PKiPfP15HIP_vector_typeIfLj2EEffffjfiS5_IjLj3EEiiiiiiiiiiiliiliiiiil.num_agpr, 0
	.set _ZL15flash_attn_tileILi320ELi256ELi1ELi32ELb1EEvPKcS1_S1_S1_S1_PKiPfP15HIP_vector_typeIfLj2EEffffjfiS5_IjLj3EEiiiiiiiiiiiliiliiiiil.numbered_sgpr, 44
	.set _ZL15flash_attn_tileILi320ELi256ELi1ELi32ELb1EEvPKcS1_S1_S1_S1_PKiPfP15HIP_vector_typeIfLj2EEffffjfiS5_IjLj3EEiiiiiiiiiiiliiliiiiil.num_named_barrier, 0
	.set _ZL15flash_attn_tileILi320ELi256ELi1ELi32ELb1EEvPKcS1_S1_S1_S1_PKiPfP15HIP_vector_typeIfLj2EEffffjfiS5_IjLj3EEiiiiiiiiiiiliiliiiiil.private_seg_size, 0
	.set _ZL15flash_attn_tileILi320ELi256ELi1ELi32ELb1EEvPKcS1_S1_S1_S1_PKiPfP15HIP_vector_typeIfLj2EEffffjfiS5_IjLj3EEiiiiiiiiiiiliiliiiiil.uses_vcc, 1
	.set _ZL15flash_attn_tileILi320ELi256ELi1ELi32ELb1EEvPKcS1_S1_S1_S1_PKiPfP15HIP_vector_typeIfLj2EEffffjfiS5_IjLj3EEiiiiiiiiiiiliiliiiiil.uses_flat_scratch, 0
	.set _ZL15flash_attn_tileILi320ELi256ELi1ELi32ELb1EEvPKcS1_S1_S1_S1_PKiPfP15HIP_vector_typeIfLj2EEffffjfiS5_IjLj3EEiiiiiiiiiiiliiliiiiil.has_dyn_sized_stack, 0
	.set _ZL15flash_attn_tileILi320ELi256ELi1ELi32ELb1EEvPKcS1_S1_S1_S1_PKiPfP15HIP_vector_typeIfLj2EEffffjfiS5_IjLj3EEiiiiiiiiiiiliiliiiiil.has_recursion, 0
	.set _ZL15flash_attn_tileILi320ELi256ELi1ELi32ELb1EEvPKcS1_S1_S1_S1_PKiPfP15HIP_vector_typeIfLj2EEffffjfiS5_IjLj3EEiiiiiiiiiiiliiliiiiil.has_indirect_call, 0
	.section	.AMDGPU.csdata,"",@progbits
; Kernel info:
; codeLenInByte = 31916
; TotalNumSgprs: 48
; NumVgprs: 105
; ScratchSize: 0
; MemoryBound: 0
; FloatMode: 240
; IeeeMode: 1
; LDSByteSize: 47104 bytes/workgroup (compile time only)
; SGPRBlocks: 12
; VGPRBlocks: 26
; NumSGPRsForWavesPerEU: 102
; NumVGPRsForWavesPerEU: 105
; Occupancy: 2
; WaveLimiterHint : 1
; COMPUTE_PGM_RSRC2:SCRATCH_EN: 0
; COMPUTE_PGM_RSRC2:USER_SGPR: 6
; COMPUTE_PGM_RSRC2:TRAP_HANDLER: 0
; COMPUTE_PGM_RSRC2:TGID_X_EN: 1
; COMPUTE_PGM_RSRC2:TGID_Y_EN: 1
; COMPUTE_PGM_RSRC2:TGID_Z_EN: 1
; COMPUTE_PGM_RSRC2:TIDIG_COMP_CNT: 1
	.section	.AMDGPU.gpr_maximums,"",@progbits
	.set amdgpu.max_num_vgpr, 0
	.set amdgpu.max_num_agpr, 0
	.set amdgpu.max_num_sgpr, 0
	.section	.AMDGPU.csdata,"",@progbits
	.type	__hip_cuid_72370de491ae25a3,@object ; @__hip_cuid_72370de491ae25a3
	.section	.bss,"aw",@nobits
	.globl	__hip_cuid_72370de491ae25a3
__hip_cuid_72370de491ae25a3:
	.byte	0                               ; 0x0
	.size	__hip_cuid_72370de491ae25a3, 1

	.ident	"AMD clang version 22.0.0git (https://github.com/RadeonOpenCompute/llvm-project roc-7.2.4 26084 f58b06dce1f9c15707c5f808fd002e18c2accf7e)"
	.section	".note.GNU-stack","",@progbits
	.addrsig
	.addrsig_sym __hip_cuid_72370de491ae25a3
	.amdgpu_metadata
---
amdhsa.kernels:
  - .args:
      - .address_space:  global
        .offset:         0
        .size:           8
        .value_kind:     global_buffer
      - .address_space:  global
        .offset:         8
        .size:           8
        .value_kind:     global_buffer
      - .address_space:  global
        .offset:         16
        .size:           8
        .value_kind:     global_buffer
      - .address_space:  global
        .offset:         24
        .size:           8
        .value_kind:     global_buffer
      - .address_space:  global
        .offset:         32
        .size:           8
        .value_kind:     global_buffer
      - .address_space:  global
        .offset:         40
        .size:           8
        .value_kind:     global_buffer
      - .address_space:  global
        .offset:         48
        .size:           8
        .value_kind:     global_buffer
      - .address_space:  global
        .offset:         56
        .size:           8
        .value_kind:     global_buffer
      - .offset:         64
        .size:           4
        .value_kind:     by_value
      - .offset:         68
        .size:           4
        .value_kind:     by_value
      - .offset:         72
        .size:           4
        .value_kind:     by_value
      - .offset:         76
        .size:           4
        .value_kind:     by_value
      - .offset:         80
        .size:           4
        .value_kind:     by_value
      - .offset:         84
        .size:           4
        .value_kind:     by_value
      - .offset:         88
        .size:           4
        .value_kind:     by_value
      - .offset:         92
        .size:           12
        .value_kind:     by_value
      - .offset:         104
        .size:           4
        .value_kind:     by_value
      - .offset:         108
        .size:           4
        .value_kind:     by_value
      - .offset:         112
        .size:           4
        .value_kind:     by_value
      - .offset:         116
        .size:           4
        .value_kind:     by_value
      - .offset:         120
        .size:           4
        .value_kind:     by_value
      - .offset:         124
        .size:           4
        .value_kind:     by_value
      - .offset:         128
        .size:           4
        .value_kind:     by_value
      - .offset:         132
        .size:           4
        .value_kind:     by_value
      - .offset:         136
        .size:           4
        .value_kind:     by_value
      - .offset:         140
        .size:           4
        .value_kind:     by_value
      - .offset:         144
        .size:           4
        .value_kind:     by_value
      - .offset:         152
        .size:           8
        .value_kind:     by_value
      - .offset:         160
        .size:           4
        .value_kind:     by_value
      - .offset:         164
        .size:           4
        .value_kind:     by_value
      - .offset:         168
        .size:           8
        .value_kind:     by_value
      - .offset:         176
        .size:           4
        .value_kind:     by_value
      - .offset:         180
        .size:           4
        .value_kind:     by_value
      - .offset:         184
        .size:           4
        .value_kind:     by_value
      - .offset:         188
        .size:           4
        .value_kind:     by_value
      - .offset:         192
        .size:           4
        .value_kind:     by_value
      - .offset:         200
        .size:           8
        .value_kind:     by_value
      - .offset:         208
        .size:           4
        .value_kind:     hidden_block_count_x
      - .offset:         212
        .size:           4
        .value_kind:     hidden_block_count_y
      - .offset:         216
        .size:           4
        .value_kind:     hidden_block_count_z
      - .offset:         220
        .size:           2
        .value_kind:     hidden_group_size_x
      - .offset:         222
        .size:           2
        .value_kind:     hidden_group_size_y
      - .offset:         224
        .size:           2
        .value_kind:     hidden_group_size_z
      - .offset:         226
        .size:           2
        .value_kind:     hidden_remainder_x
      - .offset:         228
        .size:           2
        .value_kind:     hidden_remainder_y
      - .offset:         230
        .size:           2
        .value_kind:     hidden_remainder_z
      - .offset:         248
        .size:           8
        .value_kind:     hidden_global_offset_x
      - .offset:         256
        .size:           8
        .value_kind:     hidden_global_offset_y
      - .offset:         264
        .size:           8
        .value_kind:     hidden_global_offset_z
      - .offset:         272
        .size:           2
        .value_kind:     hidden_grid_dims
    .group_segment_fixed_size: 47104
    .kernarg_segment_align: 8
    .kernarg_segment_size: 464
    .language:       OpenCL C
    .language_version:
      - 2
      - 0
    .max_flat_workgroup_size: 512
    .name:           _ZL15flash_attn_tileILi320ELi256ELi1ELi32ELb0EEvPKcS1_S1_S1_S1_PKiPfP15HIP_vector_typeIfLj2EEffffjfiS5_IjLj3EEiiiiiiiiiiiliiliiiiil
    .private_segment_fixed_size: 0
    .sgpr_count:     44
    .sgpr_spill_count: 0
    .symbol:         _ZL15flash_attn_tileILi320ELi256ELi1ELi32ELb0EEvPKcS1_S1_S1_S1_PKiPfP15HIP_vector_typeIfLj2EEffffjfiS5_IjLj3EEiiiiiiiiiiiliiliiiiil.kd
    .uniform_work_group_size: 1
    .uses_dynamic_stack: false
    .vgpr_count:     88
    .vgpr_spill_count: 0
    .wavefront_size: 64
  - .args:
      - .actual_access:  read_only
        .address_space:  global
        .offset:         0
        .size:           8
        .value_kind:     global_buffer
      - .actual_access:  write_only
        .address_space:  global
        .offset:         8
        .size:           8
        .value_kind:     global_buffer
      - .offset:         16
        .size:           4
        .value_kind:     by_value
      - .offset:         20
        .size:           4
        .value_kind:     by_value
      - .offset:         24
        .size:           4
        .value_kind:     by_value
      - .offset:         32
        .size:           4
        .value_kind:     hidden_block_count_x
      - .offset:         36
        .size:           4
        .value_kind:     hidden_block_count_y
      - .offset:         40
        .size:           4
        .value_kind:     hidden_block_count_z
      - .offset:         44
        .size:           2
        .value_kind:     hidden_group_size_x
      - .offset:         46
        .size:           2
        .value_kind:     hidden_group_size_y
      - .offset:         48
        .size:           2
        .value_kind:     hidden_group_size_z
      - .offset:         50
        .size:           2
        .value_kind:     hidden_remainder_x
      - .offset:         52
        .size:           2
        .value_kind:     hidden_remainder_y
      - .offset:         54
        .size:           2
        .value_kind:     hidden_remainder_z
      - .offset:         72
        .size:           8
        .value_kind:     hidden_global_offset_x
      - .offset:         80
        .size:           8
        .value_kind:     hidden_global_offset_y
      - .offset:         88
        .size:           8
        .value_kind:     hidden_global_offset_z
      - .offset:         96
        .size:           2
        .value_kind:     hidden_grid_dims
    .group_segment_fixed_size: 128
    .kernarg_segment_align: 8
    .kernarg_segment_size: 288
    .language:       OpenCL C
    .language_version:
      - 2
      - 0
    .max_flat_workgroup_size: 128
    .name:           _ZL25flash_attn_mask_to_KV_maxILi1EEvPK7__half2Piiii
    .private_segment_fixed_size: 0
    .sgpr_count:     22
    .sgpr_spill_count: 0
    .symbol:         _ZL25flash_attn_mask_to_KV_maxILi1EEvPK7__half2Piiii.kd
    .uniform_work_group_size: 1
    .uses_dynamic_stack: false
    .vgpr_count:     17
    .vgpr_spill_count: 0
    .wavefront_size: 64
  - .args:
      - .address_space:  global
        .offset:         0
        .size:           8
        .value_kind:     global_buffer
      - .address_space:  global
        .offset:         8
        .size:           8
        .value_kind:     global_buffer
      - .offset:         16
        .size:           4
        .value_kind:     by_value
      - .offset:         20
        .size:           4
        .value_kind:     by_value
      - .offset:         24
        .size:           4
        .value_kind:     by_value
      - .offset:         28
        .size:           4
        .value_kind:     by_value
      - .offset:         32
        .size:           4
        .value_kind:     by_value
      - .offset:         36
        .size:           4
        .value_kind:     by_value
      - .offset:         40
        .size:           12
        .value_kind:     by_value
      - .offset:         52
        .size:           12
        .value_kind:     by_value
      - .offset:         64
        .size:           12
        .value_kind:     by_value
    .group_segment_fixed_size: 0
    .kernarg_segment_align: 8
    .kernarg_segment_size: 76
    .language:       OpenCL C
    .language_version:
      - 2
      - 0
    .max_flat_workgroup_size: 256
    .name:           _ZL33flash_attn_stream_k_fixup_uniformILi256ELi1ELi32EEvPfPK15HIP_vector_typeIfLj2EEiiiiiiS1_IjLj3EES5_S5_
    .private_segment_fixed_size: 0
    .sgpr_count:     24
    .sgpr_spill_count: 0
    .symbol:         _ZL33flash_attn_stream_k_fixup_uniformILi256ELi1ELi32EEvPfPK15HIP_vector_typeIfLj2EEiiiiiiS1_IjLj3EES5_S5_.kd
    .uniform_work_group_size: 1
    .uses_dynamic_stack: false
    .vgpr_count:     17
    .vgpr_spill_count: 0
    .wavefront_size: 64
  - .args:
      - .address_space:  global
        .offset:         0
        .size:           8
        .value_kind:     global_buffer
      - .address_space:  global
        .offset:         8
        .size:           8
        .value_kind:     global_buffer
      - .offset:         16
        .size:           4
        .value_kind:     by_value
      - .offset:         20
        .size:           4
        .value_kind:     by_value
      - .offset:         24
        .size:           4
        .value_kind:     by_value
      - .offset:         28
        .size:           4
        .value_kind:     by_value
      - .offset:         32
        .size:           12
        .value_kind:     by_value
      - .offset:         44
        .size:           12
        .value_kind:     by_value
      - .offset:         56
        .size:           12
        .value_kind:     by_value
      - .offset:         68
        .size:           12
        .value_kind:     by_value
      - .offset:         80
        .size:           4
        .value_kind:     hidden_block_count_x
      - .offset:         84
        .size:           4
        .value_kind:     hidden_block_count_y
      - .offset:         88
        .size:           4
        .value_kind:     hidden_block_count_z
      - .offset:         92
        .size:           2
        .value_kind:     hidden_group_size_x
      - .offset:         94
        .size:           2
        .value_kind:     hidden_group_size_y
      - .offset:         96
        .size:           2
        .value_kind:     hidden_group_size_z
      - .offset:         98
        .size:           2
        .value_kind:     hidden_remainder_x
      - .offset:         100
        .size:           2
        .value_kind:     hidden_remainder_y
      - .offset:         102
        .size:           2
        .value_kind:     hidden_remainder_z
      - .offset:         120
        .size:           8
        .value_kind:     hidden_global_offset_x
      - .offset:         128
        .size:           8
        .value_kind:     hidden_global_offset_y
      - .offset:         136
        .size:           8
        .value_kind:     hidden_global_offset_z
      - .offset:         144
        .size:           2
        .value_kind:     hidden_grid_dims
    .group_segment_fixed_size: 0
    .kernarg_segment_align: 8
    .kernarg_segment_size: 336
    .language:       OpenCL C
    .language_version:
      - 2
      - 0
    .max_flat_workgroup_size: 256
    .name:           _ZL33flash_attn_stream_k_fixup_generalILi256ELi1ELi32EEvPfPK15HIP_vector_typeIfLj2EEiiiiS1_IjLj3EES5_S5_S5_
    .private_segment_fixed_size: 0
    .sgpr_count:     41
    .sgpr_spill_count: 0
    .symbol:         _ZL33flash_attn_stream_k_fixup_generalILi256ELi1ELi32EEvPfPK15HIP_vector_typeIfLj2EEiiiiS1_IjLj3EES5_S5_S5_.kd
    .uniform_work_group_size: 1
    .uses_dynamic_stack: false
    .vgpr_count:     18
    .vgpr_spill_count: 0
    .wavefront_size: 64
  - .args:
      - .address_space:  global
        .offset:         0
        .size:           8
        .value_kind:     global_buffer
      - .address_space:  global
        .offset:         8
        .size:           8
        .value_kind:     global_buffer
      - .address_space:  global
        .offset:         16
        .size:           8
        .value_kind:     global_buffer
      - .offset:         24
        .size:           4
        .value_kind:     by_value
      - .offset:         32
        .size:           4
        .value_kind:     hidden_block_count_x
      - .offset:         36
        .size:           4
        .value_kind:     hidden_block_count_y
      - .offset:         40
        .size:           4
        .value_kind:     hidden_block_count_z
      - .offset:         44
        .size:           2
        .value_kind:     hidden_group_size_x
      - .offset:         46
        .size:           2
        .value_kind:     hidden_group_size_y
      - .offset:         48
        .size:           2
        .value_kind:     hidden_group_size_z
      - .offset:         50
        .size:           2
        .value_kind:     hidden_remainder_x
      - .offset:         52
        .size:           2
        .value_kind:     hidden_remainder_y
      - .offset:         54
        .size:           2
        .value_kind:     hidden_remainder_z
      - .offset:         72
        .size:           8
        .value_kind:     hidden_global_offset_x
      - .offset:         80
        .size:           8
        .value_kind:     hidden_global_offset_y
      - .offset:         88
        .size:           8
        .value_kind:     hidden_global_offset_z
      - .offset:         96
        .size:           2
        .value_kind:     hidden_grid_dims
      - .offset:         152
        .size:           4
        .value_kind:     hidden_dynamic_lds_size
    .group_segment_fixed_size: 0
    .kernarg_segment_align: 8
    .kernarg_segment_size: 288
    .language:       OpenCL C
    .language_version:
      - 2
      - 0
    .max_flat_workgroup_size: 256
    .name:           _ZL26flash_attn_combine_resultsILi256EEvPKfPK15HIP_vector_typeIfLj2EEPfi
    .private_segment_fixed_size: 0
    .sgpr_count:     20
    .sgpr_spill_count: 0
    .symbol:         _ZL26flash_attn_combine_resultsILi256EEvPKfPK15HIP_vector_typeIfLj2EEPfi.kd
    .uniform_work_group_size: 1
    .uses_dynamic_stack: false
    .vgpr_count:     17
    .vgpr_spill_count: 0
    .wavefront_size: 64
  - .args:
      - .address_space:  global
        .offset:         0
        .size:           8
        .value_kind:     global_buffer
      - .address_space:  global
        .offset:         8
        .size:           8
        .value_kind:     global_buffer
      - .address_space:  global
        .offset:         16
        .size:           8
        .value_kind:     global_buffer
      - .address_space:  global
        .offset:         24
        .size:           8
        .value_kind:     global_buffer
      - .address_space:  global
        .offset:         32
        .size:           8
        .value_kind:     global_buffer
      - .address_space:  global
        .offset:         40
        .size:           8
        .value_kind:     global_buffer
      - .address_space:  global
        .offset:         48
        .size:           8
        .value_kind:     global_buffer
      - .address_space:  global
        .offset:         56
        .size:           8
        .value_kind:     global_buffer
      - .offset:         64
        .size:           4
        .value_kind:     by_value
      - .offset:         68
        .size:           4
        .value_kind:     by_value
      - .offset:         72
        .size:           4
        .value_kind:     by_value
      - .offset:         76
        .size:           4
        .value_kind:     by_value
      - .offset:         80
        .size:           4
        .value_kind:     by_value
      - .offset:         84
        .size:           4
        .value_kind:     by_value
      - .offset:         88
        .size:           4
        .value_kind:     by_value
      - .offset:         92
        .size:           12
        .value_kind:     by_value
      - .offset:         104
        .size:           4
        .value_kind:     by_value
      - .offset:         108
        .size:           4
        .value_kind:     by_value
      - .offset:         112
        .size:           4
        .value_kind:     by_value
      - .offset:         116
        .size:           4
        .value_kind:     by_value
      - .offset:         120
        .size:           4
        .value_kind:     by_value
      - .offset:         124
        .size:           4
        .value_kind:     by_value
      - .offset:         128
        .size:           4
        .value_kind:     by_value
      - .offset:         132
        .size:           4
        .value_kind:     by_value
      - .offset:         136
        .size:           4
        .value_kind:     by_value
      - .offset:         140
        .size:           4
        .value_kind:     by_value
      - .offset:         144
        .size:           4
        .value_kind:     by_value
      - .offset:         152
        .size:           8
        .value_kind:     by_value
      - .offset:         160
        .size:           4
        .value_kind:     by_value
      - .offset:         164
        .size:           4
        .value_kind:     by_value
      - .offset:         168
        .size:           8
        .value_kind:     by_value
      - .offset:         176
        .size:           4
        .value_kind:     by_value
      - .offset:         180
        .size:           4
        .value_kind:     by_value
      - .offset:         184
        .size:           4
        .value_kind:     by_value
      - .offset:         188
        .size:           4
        .value_kind:     by_value
      - .offset:         192
        .size:           4
        .value_kind:     by_value
      - .offset:         200
        .size:           8
        .value_kind:     by_value
      - .offset:         208
        .size:           4
        .value_kind:     hidden_block_count_x
      - .offset:         212
        .size:           4
        .value_kind:     hidden_block_count_y
      - .offset:         216
        .size:           4
        .value_kind:     hidden_block_count_z
      - .offset:         220
        .size:           2
        .value_kind:     hidden_group_size_x
      - .offset:         222
        .size:           2
        .value_kind:     hidden_group_size_y
      - .offset:         224
        .size:           2
        .value_kind:     hidden_group_size_z
      - .offset:         226
        .size:           2
        .value_kind:     hidden_remainder_x
      - .offset:         228
        .size:           2
        .value_kind:     hidden_remainder_y
      - .offset:         230
        .size:           2
        .value_kind:     hidden_remainder_z
      - .offset:         248
        .size:           8
        .value_kind:     hidden_global_offset_x
      - .offset:         256
        .size:           8
        .value_kind:     hidden_global_offset_y
      - .offset:         264
        .size:           8
        .value_kind:     hidden_global_offset_z
      - .offset:         272
        .size:           2
        .value_kind:     hidden_grid_dims
    .group_segment_fixed_size: 47104
    .kernarg_segment_align: 8
    .kernarg_segment_size: 464
    .language:       OpenCL C
    .language_version:
      - 2
      - 0
    .max_flat_workgroup_size: 512
    .name:           _ZL15flash_attn_tileILi320ELi256ELi1ELi32ELb1EEvPKcS1_S1_S1_S1_PKiPfP15HIP_vector_typeIfLj2EEffffjfiS5_IjLj3EEiiiiiiiiiiiliiliiiiil
    .private_segment_fixed_size: 0
    .sgpr_count:     48
    .sgpr_spill_count: 0
    .symbol:         _ZL15flash_attn_tileILi320ELi256ELi1ELi32ELb1EEvPKcS1_S1_S1_S1_PKiPfP15HIP_vector_typeIfLj2EEffffjfiS5_IjLj3EEiiiiiiiiiiiliiliiiiil.kd
    .uniform_work_group_size: 1
    .uses_dynamic_stack: false
    .vgpr_count:     105
    .vgpr_spill_count: 0
    .wavefront_size: 64
amdhsa.target:   amdgcn-amd-amdhsa--gfx906
amdhsa.version:
  - 1
  - 2
...

	.end_amdgpu_metadata
